;; amdgpu-corpus repo=ROCm/rocSOLVER kind=compiled arch=gfx90a opt=O3
	.text
	.amdgcn_target "amdgcn-amd-amdhsa--gfx90a"
	.amdhsa_code_object_version 6
	.section	.text._ZN9rocsolver6v33100L16mfma_gemm_kernelIdiPKdPdS4_S4_EEv18rocblas_operation_S5_T0_S6_S6_T1_T2_lS6_S6_lT3_lS6_S6_lS7_T4_lS6_S6_l,"axG",@progbits,_ZN9rocsolver6v33100L16mfma_gemm_kernelIdiPKdPdS4_S4_EEv18rocblas_operation_S5_T0_S6_S6_T1_T2_lS6_S6_lT3_lS6_S6_lS7_T4_lS6_S6_l,comdat
	.globl	_ZN9rocsolver6v33100L16mfma_gemm_kernelIdiPKdPdS4_S4_EEv18rocblas_operation_S5_T0_S6_S6_T1_T2_lS6_S6_lT3_lS6_S6_lS7_T4_lS6_S6_l ; -- Begin function _ZN9rocsolver6v33100L16mfma_gemm_kernelIdiPKdPdS4_S4_EEv18rocblas_operation_S5_T0_S6_S6_T1_T2_lS6_S6_lT3_lS6_S6_lS7_T4_lS6_S6_l
	.p2align	8
	.type	_ZN9rocsolver6v33100L16mfma_gemm_kernelIdiPKdPdS4_S4_EEv18rocblas_operation_S5_T0_S6_S6_T1_T2_lS6_S6_lT3_lS6_S6_lS7_T4_lS6_S6_l,@function
_ZN9rocsolver6v33100L16mfma_gemm_kernelIdiPKdPdS4_S4_EEv18rocblas_operation_S5_T0_S6_S6_T1_T2_lS6_S6_lT3_lS6_S6_lS7_T4_lS6_S6_l: ; @_ZN9rocsolver6v33100L16mfma_gemm_kernelIdiPKdPdS4_S4_EEv18rocblas_operation_S5_T0_S6_S6_T1_T2_lS6_S6_lT3_lS6_S6_lS7_T4_lS6_S6_l
; %bb.0:
	s_load_dword s0, s[4:5], 0x94
	s_load_dwordx4 s[28:31], s[4:5], 0x0
	v_and_b32_e32 v22, 0x3ff, v0
	v_bfe_u32 v0, v0, 10, 10
	v_lshrrev_b32_e32 v1, 6, v22
	s_waitcnt lgkmcnt(0)
	s_lshr_b32 s1, s0, 16
	s_bfe_u32 s0, s0, 0xa0006
	s_mul_i32 s7, s7, s1
	s_mul_i32 s6, s6, s0
	v_add_u32_e32 v0, s7, v0
	v_add_lshl_u32 v23, s6, v1, 4
	v_lshlrev_b32_e32 v24, 4, v0
	v_cmp_gt_i32_e32 vcc, s30, v23
	v_cmp_gt_i32_e64 s[0:1], s31, v24
	s_and_b64 s[0:1], vcc, s[0:1]
	s_and_saveexec_b64 s[2:3], s[0:1]
	s_cbranch_execz .LBB0_36
; %bb.1:
	s_ashr_i32 s6, s30, 31
	s_lshr_b32 s6, s6, 28
	s_add_i32 s6, s30, s6
	s_and_b32 s6, s6, -16
	s_load_dword s33, s[4:5], 0x10
	s_load_dwordx4 s[0:3], s[4:5], 0x18
	s_load_dwordx8 s[12:19], s[4:5], 0x58
	s_sub_i32 s6, s30, s6
	v_mov_b32_e32 v1, s6
	s_ashr_i32 s6, s31, 31
	s_lshr_b32 s6, s6, 28
	v_add_u32_e32 v0, 16, v23
	s_add_i32 s6, s31, s6
	v_cmp_lt_i32_e32 vcc, s30, v0
	v_add_u32_e32 v0, 16, v24
	s_and_b32 s6, s6, -16
	v_cndmask_b32_e32 v20, 16, v1, vcc
	s_sub_i32 s6, s31, s6
	v_cmp_lt_i32_e32 vcc, s31, v0
	s_waitcnt lgkmcnt(0)
	s_load_dwordx2 s[30:31], s[0:1], 0x0
	s_load_dwordx2 s[34:35], s[14:15], 0x0
	v_mov_b32_e32 v1, s6
	v_cndmask_b32_e32 v25, 16, v1, vcc
	s_ashr_i32 s9, s8, 31
	v_bfe_u32 v26, v22, 2, 4
	v_pk_mov_b32 v[6:7], 0, 0
	v_and_b32_e32 v21, 3, v22
	s_cmp_lt_i32 s33, 1
	v_cmp_lt_i32_e64 s[0:1], v26, v25
	v_mbcnt_lo_u32_b32 v27, -1, 0
	v_pk_mov_b32 v[4:5], v[6:7], v[6:7] op_sel:[0,1]
	v_pk_mov_b32 v[2:3], v[6:7], v[6:7] op_sel:[0,1]
	;; [unrolled: 1-line block ×3, first 2 shown]
	s_cbranch_scc1 .LBB0_28
; %bb.2:
	s_load_dwordx8 s[20:27], s[4:5], 0x28
	s_load_dwordx4 s[36:39], s[4:5], 0x48
	v_and_b32_e32 v2, 63, v22
	v_lshrrev_b32_e32 v32, 4, v2
	s_waitcnt lgkmcnt(0)
	s_mul_i32 s6, s8, s25
	s_mul_hi_u32 s7, s8, s24
	s_mul_i32 s10, s9, s24
	s_add_i32 s6, s7, s6
	s_add_i32 s7, s6, s10
	s_mul_i32 s6, s8, s24
	s_lshl_b64 s[6:7], s[6:7], 3
	s_add_u32 s6, s2, s6
	s_addc_u32 s7, s3, s7
	s_lshl_b64 s[2:3], s[20:21], 3
	s_add_u32 s6, s6, s2
	s_addc_u32 s7, s7, s3
	s_mul_i32 s2, s8, s13
	s_mul_hi_u32 s3, s8, s12
	s_add_i32 s2, s3, s2
	s_mul_i32 s3, s9, s12
	s_add_i32 s3, s2, s3
	s_mul_i32 s2, s8, s12
	s_lshl_b64 s[2:3], s[2:3], 3
	s_add_u32 s10, s26, s2
	s_addc_u32 s11, s27, s3
	s_lshl_b64 s[2:3], s[36:37], 3
	s_add_u32 s2, s10, s2
	s_addc_u32 s3, s11, s3
	s_cmpk_lg_i32 s28, 0x6f
	s_cselect_b64 s[12:13], -1, 0
	s_cmpk_eq_i32 s28, 0x6f
	s_cselect_b32 s10, s22, s23
	v_mul_lo_u32 v0, v23, s10
	v_ashrrev_i32_e32 v1, 31, v0
	s_cmpk_lg_i32 s29, 0x6f
	v_lshlrev_b64 v[0:1], 3, v[0:1]
	s_cselect_b64 s[14:15], -1, 0
	s_cmpk_eq_i32 s29, 0x6f
	v_add_co_u32_e32 v28, vcc, s6, v0
	s_cselect_b32 s6, s39, s38
	v_mov_b32_e32 v3, s7
	v_mul_lo_u32 v0, v24, s6
	v_addc_co_u32_e32 v29, vcc, v3, v1, vcc
	v_ashrrev_i32_e32 v1, 31, v0
	v_lshlrev_b64 v[0:1], 3, v[0:1]
	v_mov_b32_e32 v3, s3
	v_add_co_u32_e32 v30, vcc, s2, v0
	v_addc_co_u32_e32 v31, vcc, v3, v1, vcc
	v_and_b32_e32 v1, 15, v22
	v_mul_lo_u32 v0, v1, s22
	v_lshl_or_b32 v3, v1, 2, v32
	v_mul_lo_u32 v2, v1, s38
	v_mad_u64_u32 v[8:9], s[20:21], s23, v32, v[0:1]
	v_mul_lo_u32 v0, s22, v21
	v_mad_u64_u32 v[10:11], s[20:21], v26, s23, v[0:1]
	;; [unrolled: 2-line block ×3, first 2 shown]
	v_mbcnt_hi_u32_b32 v2, -1, v27
	v_cmp_lt_i32_e64 s[6:7], v1, v20
	v_cmp_lt_i32_e64 s[10:11], v1, v25
	v_mad_u64_u32 v[12:13], s[20:21], v26, s39, v[0:1]
	v_pk_mov_b32 v[0:1], 0, 0
	v_and_or_b32 v2, v2, 64, v3
	v_cmp_lt_i32_e64 s[2:3], v26, v20
	s_lshl_b32 s24, s23, 2
	s_lshl_b32 s25, s22, 2
	;; [unrolled: 1-line block ×4, first 2 shown]
	s_mov_b32 s28, 0
	v_lshlrev_b32_e32 v33, 2, v2
	v_pk_mov_b32 v[2:3], v[0:1], v[0:1] op_sel:[0,1]
	v_pk_mov_b32 v[4:5], v[0:1], v[0:1] op_sel:[0,1]
	v_pk_mov_b32 v[6:7], v[0:1], v[0:1] op_sel:[0,1]
	s_branch .LBB0_6
.LBB0_3:                                ;   in Loop: Header=BB0_6 Depth=1
	s_or_b64 exec, exec, s[22:23]
.LBB0_4:                                ;   in Loop: Header=BB0_6 Depth=1
	s_or_b64 exec, exec, s[20:21]
	s_waitcnt vmcnt(0)
	ds_bpermute_b32 v18, v33, v18
	ds_bpermute_b32 v19, v33, v19
.LBB0_5:                                ;   in Loop: Header=BB0_6 Depth=1
	s_waitcnt vmcnt(0) lgkmcnt(0)
	v_mfma_f64_16x16x4f64 v[0:7], v[16:17], v[18:19], v[0:7]
	s_add_i32 s28, s28, 4
	s_cmp_ge_i32 s28, s33
	v_add_u32_e32 v8, s24, v8
	v_add_u32_e32 v10, s25, v10
	;; [unrolled: 1-line block ×4, first 2 shown]
	s_cbranch_scc1 .LBB0_28
.LBB0_6:                                ; =>This Inner Loop Header: Depth=1
	s_and_b64 vcc, exec, s[12:13]
	s_cbranch_vccz .LBB0_18
; %bb.7:                                ;   in Loop: Header=BB0_6 Depth=1
	v_pk_mov_b32 v[16:17], 0, 0
	s_and_saveexec_b64 s[20:21], s[2:3]
	s_cbranch_execz .LBB0_11
; %bb.8:                                ;   in Loop: Header=BB0_6 Depth=1
	v_add_u32_e32 v9, s28, v21
	v_cmp_gt_i32_e32 vcc, s33, v9
	v_pk_mov_b32 v[16:17], 0, 0
	s_and_saveexec_b64 s[22:23], vcc
	s_cbranch_execz .LBB0_10
; %bb.9:                                ;   in Loop: Header=BB0_6 Depth=1
	v_ashrrev_i32_e32 v11, 31, v10
	v_lshlrev_b64 v[16:17], 3, v[10:11]
	v_add_co_u32_e32 v16, vcc, v28, v16
	v_addc_co_u32_e32 v17, vcc, v29, v17, vcc
	global_load_dwordx2 v[16:17], v[16:17], off
.LBB0_10:                               ;   in Loop: Header=BB0_6 Depth=1
	s_or_b64 exec, exec, s[22:23]
.LBB0_11:                               ;   in Loop: Header=BB0_6 Depth=1
	s_or_b64 exec, exec, s[20:21]
	s_waitcnt vmcnt(0)
	ds_bpermute_b32 v16, v33, v16
	ds_bpermute_b32 v17, v33, v17
.LBB0_12:                               ;   in Loop: Header=BB0_6 Depth=1
	s_and_b64 vcc, exec, s[14:15]
	s_cbranch_vccz .LBB0_24
.LBB0_13:                               ;   in Loop: Header=BB0_6 Depth=1
	v_pk_mov_b32 v[18:19], 0, 0
	s_and_saveexec_b64 s[20:21], s[10:11]
	s_cbranch_execz .LBB0_17
; %bb.14:                               ;   in Loop: Header=BB0_6 Depth=1
	v_add_u32_e32 v9, s28, v32
	v_cmp_gt_i32_e32 vcc, s33, v9
	v_pk_mov_b32 v[18:19], 0, 0
	s_and_saveexec_b64 s[22:23], vcc
	s_cbranch_execz .LBB0_16
; %bb.15:                               ;   in Loop: Header=BB0_6 Depth=1
	v_ashrrev_i32_e32 v15, 31, v14
	v_lshlrev_b64 v[18:19], 3, v[14:15]
	v_add_co_u32_e32 v18, vcc, v30, v18
	v_addc_co_u32_e32 v19, vcc, v31, v19, vcc
	global_load_dwordx2 v[18:19], v[18:19], off
.LBB0_16:                               ;   in Loop: Header=BB0_6 Depth=1
	s_or_b64 exec, exec, s[22:23]
.LBB0_17:                               ;   in Loop: Header=BB0_6 Depth=1
	s_or_b64 exec, exec, s[20:21]
	s_cbranch_execnz .LBB0_5
	s_branch .LBB0_25
.LBB0_18:                               ;   in Loop: Header=BB0_6 Depth=1
                                        ; implicit-def: $vgpr16_vgpr17
	s_cbranch_execz .LBB0_12
; %bb.19:                               ;   in Loop: Header=BB0_6 Depth=1
	s_waitcnt lgkmcnt(0)
	v_pk_mov_b32 v[16:17], 0, 0
	s_and_saveexec_b64 s[20:21], s[6:7]
	s_cbranch_execz .LBB0_23
; %bb.20:                               ;   in Loop: Header=BB0_6 Depth=1
	v_add_u32_e32 v9, s28, v32
	v_cmp_gt_i32_e32 vcc, s33, v9
	v_pk_mov_b32 v[16:17], 0, 0
	s_and_saveexec_b64 s[22:23], vcc
	s_cbranch_execz .LBB0_22
; %bb.21:                               ;   in Loop: Header=BB0_6 Depth=1
	v_ashrrev_i32_e32 v9, 31, v8
	v_lshlrev_b64 v[16:17], 3, v[8:9]
	v_add_co_u32_e32 v16, vcc, v28, v16
	v_addc_co_u32_e32 v17, vcc, v29, v17, vcc
	global_load_dwordx2 v[16:17], v[16:17], off
.LBB0_22:                               ;   in Loop: Header=BB0_6 Depth=1
	s_or_b64 exec, exec, s[22:23]
.LBB0_23:                               ;   in Loop: Header=BB0_6 Depth=1
	s_or_b64 exec, exec, s[20:21]
	s_and_b64 vcc, exec, s[14:15]
	s_cbranch_vccnz .LBB0_13
.LBB0_24:                               ;   in Loop: Header=BB0_6 Depth=1
                                        ; implicit-def: $vgpr18_vgpr19
.LBB0_25:                               ;   in Loop: Header=BB0_6 Depth=1
	s_waitcnt vmcnt(0)
	v_pk_mov_b32 v[18:19], 0, 0
	s_and_saveexec_b64 s[20:21], s[0:1]
	s_cbranch_execz .LBB0_4
; %bb.26:                               ;   in Loop: Header=BB0_6 Depth=1
	v_add_u32_e32 v9, s28, v21
	v_cmp_gt_i32_e32 vcc, s33, v9
	v_pk_mov_b32 v[18:19], 0, 0
	s_and_saveexec_b64 s[22:23], vcc
	s_cbranch_execz .LBB0_3
; %bb.27:                               ;   in Loop: Header=BB0_6 Depth=1
	v_ashrrev_i32_e32 v13, 31, v12
	v_lshlrev_b64 v[18:19], 3, v[12:13]
	v_add_co_u32_e32 v18, vcc, v30, v18
	v_addc_co_u32_e32 v19, vcc, v31, v19, vcc
	global_load_dwordx2 v[18:19], v[18:19], off
	s_branch .LBB0_3
.LBB0_28:
	s_load_dwordx4 s[4:7], s[4:5], 0x78
	s_waitcnt lgkmcnt(0)
	s_mul_i32 s1, s8, s7
	s_mul_hi_u32 s2, s8, s6
	s_mul_i32 s3, s9, s6
	s_add_i32 s1, s2, s1
	s_mul_i32 s0, s8, s6
	s_add_i32 s1, s1, s3
	s_lshl_b64 s[0:1], s[0:1], 3
	s_add_u32 s2, s16, s0
	s_addc_u32 s3, s17, s1
	s_lshl_b64 s[0:1], s[18:19], 3
	s_add_u32 s2, s2, s0
	v_mul_lo_u32 v8, v23, s4
	s_addc_u32 s3, s3, s1
	v_mad_u64_u32 v[8:9], s[0:1], v24, s5, v[8:9]
	v_ashrrev_i32_e32 v9, 31, v8
	v_lshlrev_b64 v[8:9], 3, v[8:9]
	v_mov_b32_e32 v11, s3
	v_add_co_u32_e32 v10, vcc, s2, v8
	v_addc_co_u32_e32 v11, vcc, v11, v9, vcc
	v_lshlrev_b32_e32 v8, 4, v22
	v_mbcnt_hi_u32_b32 v9, -1, v27
	v_and_b32_e32 v8, 48, v8
	v_and_b32_e32 v9, 64, v9
	v_or3_b32 v8, v8, v9, v26
	v_lshlrev_b32_e32 v12, 2, v8
	ds_bpermute_b32 v8, v12, v0
	ds_bpermute_b32 v9, v12, v1
	v_cmp_lt_i32_e32 vcc, v26, v25
	v_cmp_lt_i32_e64 s[0:1], v21, v20
	v_mul_lo_u32 v0, v26, s5
	s_and_b64 s[0:1], vcc, s[0:1]
	s_and_saveexec_b64 s[2:3], s[0:1]
	s_cbranch_execz .LBB0_30
; %bb.29:
	v_mad_u64_u32 v[14:15], s[0:1], v21, s4, v[0:1]
	v_ashrrev_i32_e32 v15, 31, v14
	v_lshlrev_b64 v[14:15], 3, v[14:15]
	v_add_co_u32_e64 v14, s[0:1], v10, v14
	v_addc_co_u32_e64 v15, s[0:1], v11, v15, s[0:1]
	global_load_dwordx2 v[16:17], v[14:15], off
	s_waitcnt vmcnt(0)
	v_mul_f64 v[16:17], s[34:35], v[16:17]
	s_waitcnt lgkmcnt(0)
	v_fmac_f64_e32 v[16:17], s[30:31], v[8:9]
	global_store_dwordx2 v[14:15], v[16:17], off
.LBB0_30:
	s_or_b64 exec, exec, s[2:3]
	ds_bpermute_b32 v2, v12, v2
	ds_bpermute_b32 v3, v12, v3
	v_or_b32_e32 v1, 4, v21
	v_cmp_lt_i32_e64 s[0:1], v1, v20
	s_and_b64 s[0:1], vcc, s[0:1]
	s_and_saveexec_b64 s[2:3], s[0:1]
	s_cbranch_execz .LBB0_32
; %bb.31:
	s_waitcnt lgkmcnt(2)
	v_mad_u64_u32 v[8:9], s[0:1], v1, s4, v[0:1]
	v_ashrrev_i32_e32 v9, 31, v8
	v_lshlrev_b64 v[8:9], 3, v[8:9]
	v_add_co_u32_e64 v8, s[0:1], v10, v8
	v_addc_co_u32_e64 v9, s[0:1], v11, v9, s[0:1]
	global_load_dwordx2 v[14:15], v[8:9], off
	s_waitcnt vmcnt(0)
	v_mul_f64 v[14:15], s[34:35], v[14:15]
	s_waitcnt lgkmcnt(0)
	v_fmac_f64_e32 v[14:15], s[30:31], v[2:3]
	global_store_dwordx2 v[8:9], v[14:15], off
.LBB0_32:
	s_or_b64 exec, exec, s[2:3]
	s_waitcnt lgkmcnt(1)
	ds_bpermute_b32 v2, v12, v4
	s_waitcnt lgkmcnt(1)
	ds_bpermute_b32 v3, v12, v5
	v_or_b32_e32 v1, 8, v21
	v_cmp_lt_i32_e64 s[0:1], v1, v20
	s_and_b64 s[0:1], vcc, s[0:1]
	s_and_saveexec_b64 s[2:3], s[0:1]
	s_cbranch_execz .LBB0_34
; %bb.33:
	v_mad_u64_u32 v[4:5], s[0:1], v1, s4, v[0:1]
	v_ashrrev_i32_e32 v5, 31, v4
	v_lshlrev_b64 v[4:5], 3, v[4:5]
	v_add_co_u32_e64 v4, s[0:1], v10, v4
	v_addc_co_u32_e64 v5, s[0:1], v11, v5, s[0:1]
	global_load_dwordx2 v[8:9], v[4:5], off
	s_waitcnt vmcnt(0)
	v_mul_f64 v[8:9], s[34:35], v[8:9]
	s_waitcnt lgkmcnt(0)
	v_fmac_f64_e32 v[8:9], s[30:31], v[2:3]
	global_store_dwordx2 v[4:5], v[8:9], off
.LBB0_34:
	s_or_b64 exec, exec, s[2:3]
	s_waitcnt lgkmcnt(1)
	ds_bpermute_b32 v2, v12, v6
	s_waitcnt lgkmcnt(1)
	ds_bpermute_b32 v3, v12, v7
	v_or_b32_e32 v1, 12, v21
	v_cmp_lt_i32_e64 s[0:1], v1, v20
	s_and_b64 s[0:1], vcc, s[0:1]
	s_and_b64 exec, exec, s[0:1]
	s_cbranch_execz .LBB0_36
; %bb.35:
	v_mad_u64_u32 v[0:1], s[0:1], v1, s4, v[0:1]
	v_ashrrev_i32_e32 v1, 31, v0
	v_lshlrev_b64 v[0:1], 3, v[0:1]
	v_add_co_u32_e32 v0, vcc, v10, v0
	v_addc_co_u32_e32 v1, vcc, v11, v1, vcc
	global_load_dwordx2 v[4:5], v[0:1], off
	s_waitcnt vmcnt(0)
	v_mul_f64 v[4:5], s[34:35], v[4:5]
	s_waitcnt lgkmcnt(0)
	v_fmac_f64_e32 v[4:5], s[30:31], v[2:3]
	global_store_dwordx2 v[0:1], v[4:5], off
.LBB0_36:
	s_endpgm
	.section	.rodata,"a",@progbits
	.p2align	6, 0x0
	.amdhsa_kernel _ZN9rocsolver6v33100L16mfma_gemm_kernelIdiPKdPdS4_S4_EEv18rocblas_operation_S5_T0_S6_S6_T1_T2_lS6_S6_lT3_lS6_S6_lS7_T4_lS6_S6_l
		.amdhsa_group_segment_fixed_size 0
		.amdhsa_private_segment_fixed_size 0
		.amdhsa_kernarg_size 392
		.amdhsa_user_sgpr_count 6
		.amdhsa_user_sgpr_private_segment_buffer 1
		.amdhsa_user_sgpr_dispatch_ptr 0
		.amdhsa_user_sgpr_queue_ptr 0
		.amdhsa_user_sgpr_kernarg_segment_ptr 1
		.amdhsa_user_sgpr_dispatch_id 0
		.amdhsa_user_sgpr_flat_scratch_init 0
		.amdhsa_user_sgpr_kernarg_preload_length 0
		.amdhsa_user_sgpr_kernarg_preload_offset 0
		.amdhsa_user_sgpr_private_segment_size 0
		.amdhsa_uses_dynamic_stack 0
		.amdhsa_system_sgpr_private_segment_wavefront_offset 0
		.amdhsa_system_sgpr_workgroup_id_x 1
		.amdhsa_system_sgpr_workgroup_id_y 1
		.amdhsa_system_sgpr_workgroup_id_z 1
		.amdhsa_system_sgpr_workgroup_info 0
		.amdhsa_system_vgpr_workitem_id 1
		.amdhsa_next_free_vgpr 34
		.amdhsa_next_free_sgpr 40
		.amdhsa_accum_offset 36
		.amdhsa_reserve_vcc 1
		.amdhsa_reserve_flat_scratch 0
		.amdhsa_float_round_mode_32 0
		.amdhsa_float_round_mode_16_64 0
		.amdhsa_float_denorm_mode_32 3
		.amdhsa_float_denorm_mode_16_64 3
		.amdhsa_dx10_clamp 1
		.amdhsa_ieee_mode 1
		.amdhsa_fp16_overflow 0
		.amdhsa_tg_split 0
		.amdhsa_exception_fp_ieee_invalid_op 0
		.amdhsa_exception_fp_denorm_src 0
		.amdhsa_exception_fp_ieee_div_zero 0
		.amdhsa_exception_fp_ieee_overflow 0
		.amdhsa_exception_fp_ieee_underflow 0
		.amdhsa_exception_fp_ieee_inexact 0
		.amdhsa_exception_int_div_zero 0
	.end_amdhsa_kernel
	.section	.text._ZN9rocsolver6v33100L16mfma_gemm_kernelIdiPKdPdS4_S4_EEv18rocblas_operation_S5_T0_S6_S6_T1_T2_lS6_S6_lT3_lS6_S6_lS7_T4_lS6_S6_l,"axG",@progbits,_ZN9rocsolver6v33100L16mfma_gemm_kernelIdiPKdPdS4_S4_EEv18rocblas_operation_S5_T0_S6_S6_T1_T2_lS6_S6_lT3_lS6_S6_lS7_T4_lS6_S6_l,comdat
.Lfunc_end0:
	.size	_ZN9rocsolver6v33100L16mfma_gemm_kernelIdiPKdPdS4_S4_EEv18rocblas_operation_S5_T0_S6_S6_T1_T2_lS6_S6_lT3_lS6_S6_lS7_T4_lS6_S6_l, .Lfunc_end0-_ZN9rocsolver6v33100L16mfma_gemm_kernelIdiPKdPdS4_S4_EEv18rocblas_operation_S5_T0_S6_S6_T1_T2_lS6_S6_lT3_lS6_S6_lS7_T4_lS6_S6_l
                                        ; -- End function
	.section	.AMDGPU.csdata,"",@progbits
; Kernel info:
; codeLenInByte = 1732
; NumSgprs: 44
; NumVgprs: 34
; NumAgprs: 0
; TotalNumVgprs: 34
; ScratchSize: 0
; MemoryBound: 0
; FloatMode: 240
; IeeeMode: 1
; LDSByteSize: 0 bytes/workgroup (compile time only)
; SGPRBlocks: 5
; VGPRBlocks: 4
; NumSGPRsForWavesPerEU: 44
; NumVGPRsForWavesPerEU: 34
; AccumOffset: 36
; Occupancy: 8
; WaveLimiterHint : 0
; COMPUTE_PGM_RSRC2:SCRATCH_EN: 0
; COMPUTE_PGM_RSRC2:USER_SGPR: 6
; COMPUTE_PGM_RSRC2:TRAP_HANDLER: 0
; COMPUTE_PGM_RSRC2:TGID_X_EN: 1
; COMPUTE_PGM_RSRC2:TGID_Y_EN: 1
; COMPUTE_PGM_RSRC2:TGID_Z_EN: 1
; COMPUTE_PGM_RSRC2:TIDIG_COMP_CNT: 1
; COMPUTE_PGM_RSRC3_GFX90A:ACCUM_OFFSET: 8
; COMPUTE_PGM_RSRC3_GFX90A:TG_SPLIT: 0
	.section	.text._ZN9rocsolver6v33100L16mfma_gemm_kernelIdidPdS2_S2_EEv18rocblas_operation_S3_T0_S4_S4_T1_T2_lS4_S4_lT3_lS4_S4_lS5_T4_lS4_S4_l,"axG",@progbits,_ZN9rocsolver6v33100L16mfma_gemm_kernelIdidPdS2_S2_EEv18rocblas_operation_S3_T0_S4_S4_T1_T2_lS4_S4_lT3_lS4_S4_lS5_T4_lS4_S4_l,comdat
	.globl	_ZN9rocsolver6v33100L16mfma_gemm_kernelIdidPdS2_S2_EEv18rocblas_operation_S3_T0_S4_S4_T1_T2_lS4_S4_lT3_lS4_S4_lS5_T4_lS4_S4_l ; -- Begin function _ZN9rocsolver6v33100L16mfma_gemm_kernelIdidPdS2_S2_EEv18rocblas_operation_S3_T0_S4_S4_T1_T2_lS4_S4_lT3_lS4_S4_lS5_T4_lS4_S4_l
	.p2align	8
	.type	_ZN9rocsolver6v33100L16mfma_gemm_kernelIdidPdS2_S2_EEv18rocblas_operation_S3_T0_S4_S4_T1_T2_lS4_S4_lT3_lS4_S4_lS5_T4_lS4_S4_l,@function
_ZN9rocsolver6v33100L16mfma_gemm_kernelIdidPdS2_S2_EEv18rocblas_operation_S3_T0_S4_S4_T1_T2_lS4_S4_lT3_lS4_S4_lS5_T4_lS4_S4_l: ; @_ZN9rocsolver6v33100L16mfma_gemm_kernelIdidPdS2_S2_EEv18rocblas_operation_S3_T0_S4_S4_T1_T2_lS4_S4_lT3_lS4_S4_lS5_T4_lS4_S4_l
; %bb.0:
	s_load_dword s0, s[4:5], 0x94
	s_load_dwordx4 s[36:39], s[4:5], 0x0
	v_and_b32_e32 v22, 0x3ff, v0
	v_bfe_u32 v0, v0, 10, 10
	v_lshrrev_b32_e32 v1, 6, v22
	s_waitcnt lgkmcnt(0)
	s_lshr_b32 s1, s0, 16
	s_bfe_u32 s0, s0, 0xa0006
	s_mul_i32 s7, s7, s1
	s_mul_i32 s6, s6, s0
	v_add_u32_e32 v0, s7, v0
	v_add_lshl_u32 v23, s6, v1, 4
	v_lshlrev_b32_e32 v24, 4, v0
	v_cmp_gt_i32_e32 vcc, s38, v23
	v_cmp_gt_i32_e64 s[0:1], s39, v24
	s_and_b64 s[0:1], vcc, s[0:1]
	s_and_saveexec_b64 s[2:3], s[0:1]
	s_cbranch_execz .LBB1_36
; %bb.1:
	s_ashr_i32 s0, s38, 31
	s_lshr_b32 s0, s0, 28
	s_add_i32 s0, s38, s0
	s_and_b32 s0, s0, -16
	s_sub_i32 s0, s38, s0
	v_mov_b32_e32 v1, s0
	s_ashr_i32 s0, s39, 31
	s_lshr_b32 s0, s0, 28
	s_add_i32 s0, s39, s0
	v_add_u32_e32 v0, 16, v23
	s_and_b32 s0, s0, -16
	v_cmp_lt_i32_e32 vcc, s38, v0
	v_add_u32_e32 v0, 16, v24
	s_sub_i32 s0, s39, s0
	s_load_dword s33, s[4:5], 0x10
	s_load_dwordx4 s[28:31], s[4:5], 0x18
	s_load_dwordx2 s[2:3], s[4:5], 0x28
	s_load_dwordx8 s[12:19], s[4:5], 0x58
	v_cndmask_b32_e32 v20, 16, v1, vcc
	v_mov_b32_e32 v1, s0
	v_cmp_lt_i32_e32 vcc, s39, v0
	v_cndmask_b32_e32 v25, 16, v1, vcc
	s_ashr_i32 s9, s8, 31
	v_bfe_u32 v26, v22, 2, 4
	v_pk_mov_b32 v[6:7], 0, 0
	v_and_b32_e32 v21, 3, v22
	s_waitcnt lgkmcnt(0)
	s_cmp_lt_i32 s33, 1
	v_cmp_lt_i32_e64 s[0:1], v26, v25
	v_mbcnt_lo_u32_b32 v27, -1, 0
	v_pk_mov_b32 v[4:5], v[6:7], v[6:7] op_sel:[0,1]
	v_pk_mov_b32 v[2:3], v[6:7], v[6:7] op_sel:[0,1]
	;; [unrolled: 1-line block ×3, first 2 shown]
	s_cbranch_scc1 .LBB1_28
; %bb.2:
	s_load_dwordx8 s[20:27], s[4:5], 0x38
	s_load_dwordx2 s[34:35], s[4:5], 0x30
	v_and_b32_e32 v2, 63, v22
	v_lshrrev_b32_e32 v32, 4, v2
	s_waitcnt lgkmcnt(0)
	s_mul_i32 s6, s8, s21
	s_mul_hi_u32 s7, s8, s20
	s_mul_i32 s10, s9, s20
	s_add_i32 s6, s7, s6
	s_add_i32 s7, s6, s10
	s_mul_i32 s6, s8, s20
	s_lshl_b64 s[6:7], s[6:7], 3
	s_add_u32 s6, s30, s6
	s_addc_u32 s7, s31, s7
	s_lshl_b64 s[2:3], s[2:3], 3
	s_add_u32 s6, s6, s2
	s_addc_u32 s7, s7, s3
	s_mul_i32 s2, s8, s13
	s_mul_hi_u32 s3, s8, s12
	s_add_i32 s2, s3, s2
	s_mul_i32 s3, s9, s12
	s_add_i32 s3, s2, s3
	s_mul_i32 s2, s8, s12
	s_lshl_b64 s[2:3], s[2:3], 3
	s_add_u32 s10, s22, s2
	s_addc_u32 s11, s23, s3
	s_lshl_b64 s[2:3], s[24:25], 3
	s_add_u32 s2, s10, s2
	s_addc_u32 s3, s11, s3
	s_cmpk_lg_i32 s36, 0x6f
	s_cselect_b64 s[12:13], -1, 0
	s_cmpk_eq_i32 s36, 0x6f
	s_cselect_b32 s10, s34, s35
	v_mul_lo_u32 v0, v23, s10
	v_ashrrev_i32_e32 v1, 31, v0
	s_cmpk_lg_i32 s37, 0x6f
	v_lshlrev_b64 v[0:1], 3, v[0:1]
	s_cselect_b64 s[20:21], -1, 0
	s_cmpk_eq_i32 s37, 0x6f
	v_add_co_u32_e32 v28, vcc, s6, v0
	s_cselect_b32 s6, s27, s26
	v_mov_b32_e32 v3, s7
	v_mul_lo_u32 v0, v24, s6
	v_addc_co_u32_e32 v29, vcc, v3, v1, vcc
	v_ashrrev_i32_e32 v1, 31, v0
	v_lshlrev_b64 v[0:1], 3, v[0:1]
	v_mov_b32_e32 v3, s3
	v_add_co_u32_e32 v30, vcc, s2, v0
	v_addc_co_u32_e32 v31, vcc, v3, v1, vcc
	v_and_b32_e32 v1, 15, v22
	v_mul_lo_u32 v0, v1, s34
	v_lshl_or_b32 v3, v1, 2, v32
	v_mul_lo_u32 v2, v1, s26
	v_mad_u64_u32 v[8:9], s[22:23], s35, v32, v[0:1]
	v_mul_lo_u32 v0, s34, v21
	v_mad_u64_u32 v[10:11], s[22:23], v26, s35, v[0:1]
	;; [unrolled: 2-line block ×3, first 2 shown]
	v_mbcnt_hi_u32_b32 v2, -1, v27
	v_cmp_lt_i32_e64 s[6:7], v1, v20
	v_cmp_lt_i32_e64 s[10:11], v1, v25
	v_mad_u64_u32 v[12:13], s[22:23], v26, s27, v[0:1]
	v_pk_mov_b32 v[0:1], 0, 0
	v_and_or_b32 v2, v2, 64, v3
	v_cmp_lt_i32_e64 s[2:3], v26, v20
	s_lshl_b32 s30, s35, 2
	s_lshl_b32 s31, s34, 2
	;; [unrolled: 1-line block ×4, first 2 shown]
	s_mov_b32 s34, 0
	v_lshlrev_b32_e32 v33, 2, v2
	v_pk_mov_b32 v[2:3], v[0:1], v[0:1] op_sel:[0,1]
	v_pk_mov_b32 v[4:5], v[0:1], v[0:1] op_sel:[0,1]
	;; [unrolled: 1-line block ×3, first 2 shown]
	s_branch .LBB1_6
.LBB1_3:                                ;   in Loop: Header=BB1_6 Depth=1
	s_or_b64 exec, exec, s[24:25]
.LBB1_4:                                ;   in Loop: Header=BB1_6 Depth=1
	s_or_b64 exec, exec, s[22:23]
	s_waitcnt vmcnt(0)
	ds_bpermute_b32 v18, v33, v18
	ds_bpermute_b32 v19, v33, v19
.LBB1_5:                                ;   in Loop: Header=BB1_6 Depth=1
	s_waitcnt vmcnt(0) lgkmcnt(0)
	v_mfma_f64_16x16x4f64 v[0:7], v[16:17], v[18:19], v[0:7]
	s_add_i32 s34, s34, 4
	s_cmp_ge_i32 s34, s33
	v_add_u32_e32 v8, s30, v8
	v_add_u32_e32 v10, s31, v10
	;; [unrolled: 1-line block ×4, first 2 shown]
	s_cbranch_scc1 .LBB1_28
.LBB1_6:                                ; =>This Inner Loop Header: Depth=1
	s_and_b64 vcc, exec, s[12:13]
	s_cbranch_vccz .LBB1_18
; %bb.7:                                ;   in Loop: Header=BB1_6 Depth=1
	v_pk_mov_b32 v[16:17], 0, 0
	s_and_saveexec_b64 s[22:23], s[2:3]
	s_cbranch_execz .LBB1_11
; %bb.8:                                ;   in Loop: Header=BB1_6 Depth=1
	v_add_u32_e32 v9, s34, v21
	v_cmp_gt_i32_e32 vcc, s33, v9
	v_pk_mov_b32 v[16:17], 0, 0
	s_and_saveexec_b64 s[24:25], vcc
	s_cbranch_execz .LBB1_10
; %bb.9:                                ;   in Loop: Header=BB1_6 Depth=1
	v_ashrrev_i32_e32 v11, 31, v10
	v_lshlrev_b64 v[16:17], 3, v[10:11]
	v_add_co_u32_e32 v16, vcc, v28, v16
	v_addc_co_u32_e32 v17, vcc, v29, v17, vcc
	global_load_dwordx2 v[16:17], v[16:17], off
.LBB1_10:                               ;   in Loop: Header=BB1_6 Depth=1
	s_or_b64 exec, exec, s[24:25]
.LBB1_11:                               ;   in Loop: Header=BB1_6 Depth=1
	s_or_b64 exec, exec, s[22:23]
	s_waitcnt vmcnt(0)
	ds_bpermute_b32 v16, v33, v16
	ds_bpermute_b32 v17, v33, v17
.LBB1_12:                               ;   in Loop: Header=BB1_6 Depth=1
	s_and_b64 vcc, exec, s[20:21]
	s_cbranch_vccz .LBB1_24
.LBB1_13:                               ;   in Loop: Header=BB1_6 Depth=1
	v_pk_mov_b32 v[18:19], 0, 0
	s_and_saveexec_b64 s[22:23], s[10:11]
	s_cbranch_execz .LBB1_17
; %bb.14:                               ;   in Loop: Header=BB1_6 Depth=1
	v_add_u32_e32 v9, s34, v32
	v_cmp_gt_i32_e32 vcc, s33, v9
	v_pk_mov_b32 v[18:19], 0, 0
	s_and_saveexec_b64 s[24:25], vcc
	s_cbranch_execz .LBB1_16
; %bb.15:                               ;   in Loop: Header=BB1_6 Depth=1
	v_ashrrev_i32_e32 v15, 31, v14
	v_lshlrev_b64 v[18:19], 3, v[14:15]
	v_add_co_u32_e32 v18, vcc, v30, v18
	v_addc_co_u32_e32 v19, vcc, v31, v19, vcc
	global_load_dwordx2 v[18:19], v[18:19], off
.LBB1_16:                               ;   in Loop: Header=BB1_6 Depth=1
	s_or_b64 exec, exec, s[24:25]
.LBB1_17:                               ;   in Loop: Header=BB1_6 Depth=1
	s_or_b64 exec, exec, s[22:23]
	s_cbranch_execnz .LBB1_5
	s_branch .LBB1_25
.LBB1_18:                               ;   in Loop: Header=BB1_6 Depth=1
                                        ; implicit-def: $vgpr16_vgpr17
	s_cbranch_execz .LBB1_12
; %bb.19:                               ;   in Loop: Header=BB1_6 Depth=1
	s_waitcnt lgkmcnt(0)
	v_pk_mov_b32 v[16:17], 0, 0
	s_and_saveexec_b64 s[22:23], s[6:7]
	s_cbranch_execz .LBB1_23
; %bb.20:                               ;   in Loop: Header=BB1_6 Depth=1
	v_add_u32_e32 v9, s34, v32
	v_cmp_gt_i32_e32 vcc, s33, v9
	v_pk_mov_b32 v[16:17], 0, 0
	s_and_saveexec_b64 s[24:25], vcc
	s_cbranch_execz .LBB1_22
; %bb.21:                               ;   in Loop: Header=BB1_6 Depth=1
	v_ashrrev_i32_e32 v9, 31, v8
	v_lshlrev_b64 v[16:17], 3, v[8:9]
	v_add_co_u32_e32 v16, vcc, v28, v16
	v_addc_co_u32_e32 v17, vcc, v29, v17, vcc
	global_load_dwordx2 v[16:17], v[16:17], off
.LBB1_22:                               ;   in Loop: Header=BB1_6 Depth=1
	s_or_b64 exec, exec, s[24:25]
.LBB1_23:                               ;   in Loop: Header=BB1_6 Depth=1
	s_or_b64 exec, exec, s[22:23]
	s_and_b64 vcc, exec, s[20:21]
	s_cbranch_vccnz .LBB1_13
.LBB1_24:                               ;   in Loop: Header=BB1_6 Depth=1
                                        ; implicit-def: $vgpr18_vgpr19
.LBB1_25:                               ;   in Loop: Header=BB1_6 Depth=1
	s_waitcnt vmcnt(0)
	v_pk_mov_b32 v[18:19], 0, 0
	s_and_saveexec_b64 s[22:23], s[0:1]
	s_cbranch_execz .LBB1_4
; %bb.26:                               ;   in Loop: Header=BB1_6 Depth=1
	v_add_u32_e32 v9, s34, v21
	v_cmp_gt_i32_e32 vcc, s33, v9
	v_pk_mov_b32 v[18:19], 0, 0
	s_and_saveexec_b64 s[24:25], vcc
	s_cbranch_execz .LBB1_3
; %bb.27:                               ;   in Loop: Header=BB1_6 Depth=1
	v_ashrrev_i32_e32 v13, 31, v12
	v_lshlrev_b64 v[18:19], 3, v[12:13]
	v_add_co_u32_e32 v18, vcc, v30, v18
	v_addc_co_u32_e32 v19, vcc, v31, v19, vcc
	global_load_dwordx2 v[18:19], v[18:19], off
	s_branch .LBB1_3
.LBB1_28:
	s_load_dwordx4 s[4:7], s[4:5], 0x78
	s_waitcnt lgkmcnt(0)
	s_mul_i32 s1, s8, s7
	s_mul_hi_u32 s2, s8, s6
	s_mul_i32 s3, s9, s6
	s_add_i32 s1, s2, s1
	s_mul_i32 s0, s8, s6
	s_add_i32 s1, s1, s3
	s_lshl_b64 s[0:1], s[0:1], 3
	s_add_u32 s2, s16, s0
	s_addc_u32 s3, s17, s1
	s_lshl_b64 s[0:1], s[18:19], 3
	s_add_u32 s2, s2, s0
	v_mul_lo_u32 v8, v23, s4
	s_addc_u32 s3, s3, s1
	v_mad_u64_u32 v[8:9], s[0:1], v24, s5, v[8:9]
	v_ashrrev_i32_e32 v9, 31, v8
	v_lshlrev_b64 v[8:9], 3, v[8:9]
	v_mov_b32_e32 v11, s3
	v_add_co_u32_e32 v10, vcc, s2, v8
	v_addc_co_u32_e32 v11, vcc, v11, v9, vcc
	v_lshlrev_b32_e32 v8, 4, v22
	v_mbcnt_hi_u32_b32 v9, -1, v27
	v_and_b32_e32 v8, 48, v8
	v_and_b32_e32 v9, 64, v9
	v_or3_b32 v8, v8, v9, v26
	v_lshlrev_b32_e32 v12, 2, v8
	ds_bpermute_b32 v8, v12, v0
	ds_bpermute_b32 v9, v12, v1
	v_cmp_lt_i32_e32 vcc, v26, v25
	v_cmp_lt_i32_e64 s[0:1], v21, v20
	v_mul_lo_u32 v0, v26, s5
	s_and_b64 s[0:1], vcc, s[0:1]
	s_and_saveexec_b64 s[2:3], s[0:1]
	s_cbranch_execz .LBB1_30
; %bb.29:
	v_mad_u64_u32 v[14:15], s[0:1], v21, s4, v[0:1]
	v_ashrrev_i32_e32 v15, 31, v14
	v_lshlrev_b64 v[14:15], 3, v[14:15]
	v_add_co_u32_e64 v14, s[0:1], v10, v14
	v_addc_co_u32_e64 v15, s[0:1], v11, v15, s[0:1]
	global_load_dwordx2 v[16:17], v[14:15], off
	s_waitcnt vmcnt(0)
	v_mul_f64 v[16:17], v[16:17], s[14:15]
	s_waitcnt lgkmcnt(0)
	v_fmac_f64_e32 v[16:17], s[28:29], v[8:9]
	global_store_dwordx2 v[14:15], v[16:17], off
.LBB1_30:
	s_or_b64 exec, exec, s[2:3]
	ds_bpermute_b32 v2, v12, v2
	ds_bpermute_b32 v3, v12, v3
	v_or_b32_e32 v1, 4, v21
	v_cmp_lt_i32_e64 s[0:1], v1, v20
	s_and_b64 s[0:1], vcc, s[0:1]
	s_and_saveexec_b64 s[2:3], s[0:1]
	s_cbranch_execz .LBB1_32
; %bb.31:
	s_waitcnt lgkmcnt(2)
	v_mad_u64_u32 v[8:9], s[0:1], v1, s4, v[0:1]
	v_ashrrev_i32_e32 v9, 31, v8
	v_lshlrev_b64 v[8:9], 3, v[8:9]
	v_add_co_u32_e64 v8, s[0:1], v10, v8
	v_addc_co_u32_e64 v9, s[0:1], v11, v9, s[0:1]
	global_load_dwordx2 v[14:15], v[8:9], off
	s_waitcnt vmcnt(0)
	v_mul_f64 v[14:15], v[14:15], s[14:15]
	s_waitcnt lgkmcnt(0)
	v_fmac_f64_e32 v[14:15], s[28:29], v[2:3]
	global_store_dwordx2 v[8:9], v[14:15], off
.LBB1_32:
	s_or_b64 exec, exec, s[2:3]
	s_waitcnt lgkmcnt(1)
	ds_bpermute_b32 v2, v12, v4
	s_waitcnt lgkmcnt(1)
	ds_bpermute_b32 v3, v12, v5
	v_or_b32_e32 v1, 8, v21
	v_cmp_lt_i32_e64 s[0:1], v1, v20
	s_and_b64 s[0:1], vcc, s[0:1]
	s_and_saveexec_b64 s[2:3], s[0:1]
	s_cbranch_execz .LBB1_34
; %bb.33:
	v_mad_u64_u32 v[4:5], s[0:1], v1, s4, v[0:1]
	v_ashrrev_i32_e32 v5, 31, v4
	v_lshlrev_b64 v[4:5], 3, v[4:5]
	v_add_co_u32_e64 v4, s[0:1], v10, v4
	v_addc_co_u32_e64 v5, s[0:1], v11, v5, s[0:1]
	global_load_dwordx2 v[8:9], v[4:5], off
	s_waitcnt vmcnt(0)
	v_mul_f64 v[8:9], v[8:9], s[14:15]
	s_waitcnt lgkmcnt(0)
	v_fmac_f64_e32 v[8:9], s[28:29], v[2:3]
	global_store_dwordx2 v[4:5], v[8:9], off
.LBB1_34:
	s_or_b64 exec, exec, s[2:3]
	s_waitcnt lgkmcnt(1)
	ds_bpermute_b32 v2, v12, v6
	s_waitcnt lgkmcnt(1)
	ds_bpermute_b32 v3, v12, v7
	v_or_b32_e32 v1, 12, v21
	v_cmp_lt_i32_e64 s[0:1], v1, v20
	s_and_b64 s[0:1], vcc, s[0:1]
	s_and_b64 exec, exec, s[0:1]
	s_cbranch_execz .LBB1_36
; %bb.35:
	v_mad_u64_u32 v[0:1], s[0:1], v1, s4, v[0:1]
	v_ashrrev_i32_e32 v1, 31, v0
	v_lshlrev_b64 v[0:1], 3, v[0:1]
	v_add_co_u32_e32 v0, vcc, v10, v0
	v_addc_co_u32_e32 v1, vcc, v11, v1, vcc
	global_load_dwordx2 v[4:5], v[0:1], off
	s_waitcnt vmcnt(0)
	v_mul_f64 v[4:5], v[4:5], s[14:15]
	s_waitcnt lgkmcnt(0)
	v_fmac_f64_e32 v[4:5], s[28:29], v[2:3]
	global_store_dwordx2 v[0:1], v[4:5], off
.LBB1_36:
	s_endpgm
	.section	.rodata,"a",@progbits
	.p2align	6, 0x0
	.amdhsa_kernel _ZN9rocsolver6v33100L16mfma_gemm_kernelIdidPdS2_S2_EEv18rocblas_operation_S3_T0_S4_S4_T1_T2_lS4_S4_lT3_lS4_S4_lS5_T4_lS4_S4_l
		.amdhsa_group_segment_fixed_size 0
		.amdhsa_private_segment_fixed_size 0
		.amdhsa_kernarg_size 392
		.amdhsa_user_sgpr_count 6
		.amdhsa_user_sgpr_private_segment_buffer 1
		.amdhsa_user_sgpr_dispatch_ptr 0
		.amdhsa_user_sgpr_queue_ptr 0
		.amdhsa_user_sgpr_kernarg_segment_ptr 1
		.amdhsa_user_sgpr_dispatch_id 0
		.amdhsa_user_sgpr_flat_scratch_init 0
		.amdhsa_user_sgpr_kernarg_preload_length 0
		.amdhsa_user_sgpr_kernarg_preload_offset 0
		.amdhsa_user_sgpr_private_segment_size 0
		.amdhsa_uses_dynamic_stack 0
		.amdhsa_system_sgpr_private_segment_wavefront_offset 0
		.amdhsa_system_sgpr_workgroup_id_x 1
		.amdhsa_system_sgpr_workgroup_id_y 1
		.amdhsa_system_sgpr_workgroup_id_z 1
		.amdhsa_system_sgpr_workgroup_info 0
		.amdhsa_system_vgpr_workitem_id 1
		.amdhsa_next_free_vgpr 34
		.amdhsa_next_free_sgpr 40
		.amdhsa_accum_offset 36
		.amdhsa_reserve_vcc 1
		.amdhsa_reserve_flat_scratch 0
		.amdhsa_float_round_mode_32 0
		.amdhsa_float_round_mode_16_64 0
		.amdhsa_float_denorm_mode_32 3
		.amdhsa_float_denorm_mode_16_64 3
		.amdhsa_dx10_clamp 1
		.amdhsa_ieee_mode 1
		.amdhsa_fp16_overflow 0
		.amdhsa_tg_split 0
		.amdhsa_exception_fp_ieee_invalid_op 0
		.amdhsa_exception_fp_denorm_src 0
		.amdhsa_exception_fp_ieee_div_zero 0
		.amdhsa_exception_fp_ieee_overflow 0
		.amdhsa_exception_fp_ieee_underflow 0
		.amdhsa_exception_fp_ieee_inexact 0
		.amdhsa_exception_int_div_zero 0
	.end_amdhsa_kernel
	.section	.text._ZN9rocsolver6v33100L16mfma_gemm_kernelIdidPdS2_S2_EEv18rocblas_operation_S3_T0_S4_S4_T1_T2_lS4_S4_lT3_lS4_S4_lS5_T4_lS4_S4_l,"axG",@progbits,_ZN9rocsolver6v33100L16mfma_gemm_kernelIdidPdS2_S2_EEv18rocblas_operation_S3_T0_S4_S4_T1_T2_lS4_S4_lT3_lS4_S4_lS5_T4_lS4_S4_l,comdat
.Lfunc_end1:
	.size	_ZN9rocsolver6v33100L16mfma_gemm_kernelIdidPdS2_S2_EEv18rocblas_operation_S3_T0_S4_S4_T1_T2_lS4_S4_lT3_lS4_S4_lS5_T4_lS4_S4_l, .Lfunc_end1-_ZN9rocsolver6v33100L16mfma_gemm_kernelIdidPdS2_S2_EEv18rocblas_operation_S3_T0_S4_S4_T1_T2_lS4_S4_lT3_lS4_S4_lS5_T4_lS4_S4_l
                                        ; -- End function
	.section	.AMDGPU.csdata,"",@progbits
; Kernel info:
; codeLenInByte = 1724
; NumSgprs: 44
; NumVgprs: 34
; NumAgprs: 0
; TotalNumVgprs: 34
; ScratchSize: 0
; MemoryBound: 0
; FloatMode: 240
; IeeeMode: 1
; LDSByteSize: 0 bytes/workgroup (compile time only)
; SGPRBlocks: 5
; VGPRBlocks: 4
; NumSGPRsForWavesPerEU: 44
; NumVGPRsForWavesPerEU: 34
; AccumOffset: 36
; Occupancy: 8
; WaveLimiterHint : 0
; COMPUTE_PGM_RSRC2:SCRATCH_EN: 0
; COMPUTE_PGM_RSRC2:USER_SGPR: 6
; COMPUTE_PGM_RSRC2:TRAP_HANDLER: 0
; COMPUTE_PGM_RSRC2:TGID_X_EN: 1
; COMPUTE_PGM_RSRC2:TGID_Y_EN: 1
; COMPUTE_PGM_RSRC2:TGID_Z_EN: 1
; COMPUTE_PGM_RSRC2:TIDIG_COMP_CNT: 1
; COMPUTE_PGM_RSRC3_GFX90A:ACCUM_OFFSET: 8
; COMPUTE_PGM_RSRC3_GFX90A:TG_SPLIT: 0
	.section	.text._ZN9rocsolver6v33100L11gemm_kernelIdiPKdPdS4_S4_EEvT0_S5_S5_T1_bT2_lS5_S5_lbT3_lS5_S5_lS6_T4_lS5_S5_l,"axG",@progbits,_ZN9rocsolver6v33100L11gemm_kernelIdiPKdPdS4_S4_EEvT0_S5_S5_T1_bT2_lS5_S5_lbT3_lS5_S5_lS6_T4_lS5_S5_l,comdat
	.globl	_ZN9rocsolver6v33100L11gemm_kernelIdiPKdPdS4_S4_EEvT0_S5_S5_T1_bT2_lS5_S5_lbT3_lS5_S5_lS6_T4_lS5_S5_l ; -- Begin function _ZN9rocsolver6v33100L11gemm_kernelIdiPKdPdS4_S4_EEvT0_S5_S5_T1_bT2_lS5_S5_lbT3_lS5_S5_lS6_T4_lS5_S5_l
	.p2align	8
	.type	_ZN9rocsolver6v33100L11gemm_kernelIdiPKdPdS4_S4_EEvT0_S5_S5_T1_bT2_lS5_S5_lbT3_lS5_S5_lS6_T4_lS5_S5_l,@function
_ZN9rocsolver6v33100L11gemm_kernelIdiPKdPdS4_S4_EEvT0_S5_S5_T1_bT2_lS5_S5_lbT3_lS5_S5_lS6_T4_lS5_S5_l: ; @_ZN9rocsolver6v33100L11gemm_kernelIdiPKdPdS4_S4_EEvT0_S5_S5_T1_bT2_lS5_S5_lbT3_lS5_S5_lS6_T4_lS5_S5_l
; %bb.0:
	s_load_dword s9, s[4:5], 0x9c
	s_load_dwordx4 s[0:3], s[4:5], 0x0
	v_and_b32_e32 v1, 0x3ff, v0
	v_bfe_u32 v0, v0, 10, 10
	s_waitcnt lgkmcnt(0)
	s_and_b32 s3, s9, 0xffff
	s_lshr_b32 s9, s9, 16
	s_mul_i32 s7, s7, s9
	s_mul_i32 s6, s6, s3
	v_add_u32_e32 v6, s6, v1
	v_add_u32_e32 v7, s7, v0
	v_cmp_gt_i32_e32 vcc, s0, v6
	v_cmp_gt_i32_e64 s[0:1], s1, v7
	s_and_b64 s[0:1], vcc, s[0:1]
	s_and_saveexec_b64 s[6:7], s[0:1]
	s_cbranch_execz .LBB2_6
; %bb.1:
	s_load_dwordx2 s[0:1], s[4:5], 0x10
	s_load_dwordx8 s[12:19], s[4:5], 0x60
	s_ashr_i32 s9, s8, 31
	s_cmp_lt_i32 s2, 1
	s_cbranch_scc1 .LBB2_4
; %bb.2:
	s_load_dwordx8 s[20:27], s[4:5], 0x20
	s_load_dwordx2 s[6:7], s[4:5], 0x58
	s_load_dwordx4 s[28:31], s[4:5], 0x48
	s_waitcnt lgkmcnt(0)
	s_mul_i32 s3, s12, s9
	s_mul_i32 s10, s12, s8
	v_mul_lo_u32 v0, v6, s24
	v_mul_lo_u32 v2, v7, s7
	s_mul_hi_u32 s7, s12, s8
	s_add_i32 s3, s7, s3
	s_mul_i32 s7, s13, s8
	s_add_i32 s11, s3, s7
	s_lshl_b64 s[10:11], s[10:11], 3
	s_lshl_b64 s[12:13], s[30:31], 3
	s_add_u32 s3, s10, s12
	s_addc_u32 s7, s11, s13
	v_ashrrev_i32_e32 v3, 31, v2
	v_lshlrev_b64 v[2:3], 3, v[2:3]
	s_add_u32 s3, s28, s3
	v_add_co_u32_e32 v2, vcc, s3, v2
	s_mul_i32 s3, s26, s9
	s_mul_hi_u32 s10, s26, s8
	s_addc_u32 s7, s29, s7
	s_add_i32 s3, s10, s3
	s_mul_i32 s10, s27, s8
	v_mov_b32_e32 v1, s7
	s_ashr_i32 s7, s6, 31
	s_add_i32 s11, s3, s10
	s_mul_i32 s10, s26, s8
	s_lshl_b64 s[6:7], s[6:7], 3
	s_lshl_b64 s[10:11], s[10:11], 3
	;; [unrolled: 1-line block ×3, first 2 shown]
	s_add_u32 s3, s10, s12
	s_addc_u32 s10, s11, s13
	s_add_u32 s3, s20, s3
	v_addc_co_u32_e32 v3, vcc, v1, v3, vcc
	v_ashrrev_i32_e32 v1, 31, v0
	s_addc_u32 s10, s21, s10
	v_lshlrev_b64 v[0:1], 3, v[0:1]
	v_mov_b32_e32 v5, s10
	s_ashr_i32 s11, s25, 31
	s_mov_b32 s10, s25
	v_add_co_u32_e32 v4, vcc, s3, v0
	s_lshl_b64 s[10:11], s[10:11], 3
	v_addc_co_u32_e32 v5, vcc, v5, v1, vcc
	v_pk_mov_b32 v[0:1], 0, 0
	v_mov_b32_e32 v8, s7
	v_mov_b32_e32 v9, s11
.LBB2_3:                                ; =>This Inner Loop Header: Depth=1
	global_load_dwordx2 v[10:11], v[4:5], off
	global_load_dwordx2 v[12:13], v[2:3], off
	v_add_co_u32_e32 v2, vcc, s6, v2
	v_addc_co_u32_e32 v3, vcc, v3, v8, vcc
	v_add_co_u32_e32 v4, vcc, s10, v4
	s_add_i32 s2, s2, -1
	v_addc_co_u32_e32 v5, vcc, v5, v9, vcc
	s_cmp_eq_u32 s2, 0
	s_waitcnt vmcnt(0)
	v_fmac_f64_e32 v[0:1], v[10:11], v[12:13]
	s_cbranch_scc0 .LBB2_3
	s_branch .LBB2_5
.LBB2_4:
	v_pk_mov_b32 v[0:1], 0, 0
.LBB2_5:
	s_waitcnt lgkmcnt(0)
	s_load_dwordx2 s[2:3], s[0:1], 0x0
	s_load_dwordx2 s[6:7], s[14:15], 0x0
                                        ; kill: killed $sgpr0_sgpr1
                                        ; kill: killed $sgpr14_sgpr15
	s_nop 0
	s_load_dwordx4 s[12:15], s[4:5], 0x80
	s_waitcnt lgkmcnt(0)
	s_mul_i32 s1, s8, s15
	s_mul_hi_u32 s4, s8, s14
	s_mul_i32 s5, s9, s14
	s_add_i32 s1, s4, s1
	s_mul_i32 s0, s8, s14
	s_add_i32 s1, s1, s5
	s_lshl_b64 s[0:1], s[0:1], 3
	s_add_u32 s4, s16, s0
	s_addc_u32 s5, s17, s1
	s_lshl_b64 s[0:1], s[18:19], 3
	s_add_u32 s4, s4, s0
	v_mul_lo_u32 v2, v6, s12
	s_addc_u32 s5, s5, s1
	v_mad_u64_u32 v[2:3], s[0:1], v7, s13, v[2:3]
	v_ashrrev_i32_e32 v3, 31, v2
	v_lshlrev_b64 v[2:3], 3, v[2:3]
	v_mov_b32_e32 v4, s5
	v_add_co_u32_e32 v2, vcc, s4, v2
	v_addc_co_u32_e32 v3, vcc, v4, v3, vcc
	global_load_dwordx2 v[4:5], v[2:3], off
	s_waitcnt vmcnt(0)
	v_mul_f64 v[4:5], s[6:7], v[4:5]
	v_fmac_f64_e32 v[4:5], s[2:3], v[0:1]
	global_store_dwordx2 v[2:3], v[4:5], off
.LBB2_6:
	s_endpgm
	.section	.rodata,"a",@progbits
	.p2align	6, 0x0
	.amdhsa_kernel _ZN9rocsolver6v33100L11gemm_kernelIdiPKdPdS4_S4_EEvT0_S5_S5_T1_bT2_lS5_S5_lbT3_lS5_S5_lS6_T4_lS5_S5_l
		.amdhsa_group_segment_fixed_size 0
		.amdhsa_private_segment_fixed_size 0
		.amdhsa_kernarg_size 400
		.amdhsa_user_sgpr_count 6
		.amdhsa_user_sgpr_private_segment_buffer 1
		.amdhsa_user_sgpr_dispatch_ptr 0
		.amdhsa_user_sgpr_queue_ptr 0
		.amdhsa_user_sgpr_kernarg_segment_ptr 1
		.amdhsa_user_sgpr_dispatch_id 0
		.amdhsa_user_sgpr_flat_scratch_init 0
		.amdhsa_user_sgpr_kernarg_preload_length 0
		.amdhsa_user_sgpr_kernarg_preload_offset 0
		.amdhsa_user_sgpr_private_segment_size 0
		.amdhsa_uses_dynamic_stack 0
		.amdhsa_system_sgpr_private_segment_wavefront_offset 0
		.amdhsa_system_sgpr_workgroup_id_x 1
		.amdhsa_system_sgpr_workgroup_id_y 1
		.amdhsa_system_sgpr_workgroup_id_z 1
		.amdhsa_system_sgpr_workgroup_info 0
		.amdhsa_system_vgpr_workitem_id 1
		.amdhsa_next_free_vgpr 14
		.amdhsa_next_free_sgpr 32
		.amdhsa_accum_offset 16
		.amdhsa_reserve_vcc 1
		.amdhsa_reserve_flat_scratch 0
		.amdhsa_float_round_mode_32 0
		.amdhsa_float_round_mode_16_64 0
		.amdhsa_float_denorm_mode_32 3
		.amdhsa_float_denorm_mode_16_64 3
		.amdhsa_dx10_clamp 1
		.amdhsa_ieee_mode 1
		.amdhsa_fp16_overflow 0
		.amdhsa_tg_split 0
		.amdhsa_exception_fp_ieee_invalid_op 0
		.amdhsa_exception_fp_denorm_src 0
		.amdhsa_exception_fp_ieee_div_zero 0
		.amdhsa_exception_fp_ieee_overflow 0
		.amdhsa_exception_fp_ieee_underflow 0
		.amdhsa_exception_fp_ieee_inexact 0
		.amdhsa_exception_int_div_zero 0
	.end_amdhsa_kernel
	.section	.text._ZN9rocsolver6v33100L11gemm_kernelIdiPKdPdS4_S4_EEvT0_S5_S5_T1_bT2_lS5_S5_lbT3_lS5_S5_lS6_T4_lS5_S5_l,"axG",@progbits,_ZN9rocsolver6v33100L11gemm_kernelIdiPKdPdS4_S4_EEvT0_S5_S5_T1_bT2_lS5_S5_lbT3_lS5_S5_lS6_T4_lS5_S5_l,comdat
.Lfunc_end2:
	.size	_ZN9rocsolver6v33100L11gemm_kernelIdiPKdPdS4_S4_EEvT0_S5_S5_T1_bT2_lS5_S5_lbT3_lS5_S5_lS6_T4_lS5_S5_l, .Lfunc_end2-_ZN9rocsolver6v33100L11gemm_kernelIdiPKdPdS4_S4_EEvT0_S5_S5_T1_bT2_lS5_S5_lbT3_lS5_S5_lS6_T4_lS5_S5_l
                                        ; -- End function
	.section	.AMDGPU.csdata,"",@progbits
; Kernel info:
; codeLenInByte = 564
; NumSgprs: 36
; NumVgprs: 14
; NumAgprs: 0
; TotalNumVgprs: 14
; ScratchSize: 0
; MemoryBound: 0
; FloatMode: 240
; IeeeMode: 1
; LDSByteSize: 0 bytes/workgroup (compile time only)
; SGPRBlocks: 4
; VGPRBlocks: 1
; NumSGPRsForWavesPerEU: 36
; NumVGPRsForWavesPerEU: 14
; AccumOffset: 16
; Occupancy: 8
; WaveLimiterHint : 1
; COMPUTE_PGM_RSRC2:SCRATCH_EN: 0
; COMPUTE_PGM_RSRC2:USER_SGPR: 6
; COMPUTE_PGM_RSRC2:TRAP_HANDLER: 0
; COMPUTE_PGM_RSRC2:TGID_X_EN: 1
; COMPUTE_PGM_RSRC2:TGID_Y_EN: 1
; COMPUTE_PGM_RSRC2:TGID_Z_EN: 1
; COMPUTE_PGM_RSRC2:TIDIG_COMP_CNT: 1
; COMPUTE_PGM_RSRC3_GFX90A:ACCUM_OFFSET: 3
; COMPUTE_PGM_RSRC3_GFX90A:TG_SPLIT: 0
	.section	.text._ZN9rocsolver6v33100L11gemm_kernelIdidPdS2_S2_EEvT0_S3_S3_T1_bT2_lS3_S3_lbT3_lS3_S3_lS4_T4_lS3_S3_l,"axG",@progbits,_ZN9rocsolver6v33100L11gemm_kernelIdidPdS2_S2_EEvT0_S3_S3_T1_bT2_lS3_S3_lbT3_lS3_S3_lS4_T4_lS3_S3_l,comdat
	.globl	_ZN9rocsolver6v33100L11gemm_kernelIdidPdS2_S2_EEvT0_S3_S3_T1_bT2_lS3_S3_lbT3_lS3_S3_lS4_T4_lS3_S3_l ; -- Begin function _ZN9rocsolver6v33100L11gemm_kernelIdidPdS2_S2_EEvT0_S3_S3_T1_bT2_lS3_S3_lbT3_lS3_S3_lS4_T4_lS3_S3_l
	.p2align	8
	.type	_ZN9rocsolver6v33100L11gemm_kernelIdidPdS2_S2_EEvT0_S3_S3_T1_bT2_lS3_S3_lbT3_lS3_S3_lS4_T4_lS3_S3_l,@function
_ZN9rocsolver6v33100L11gemm_kernelIdidPdS2_S2_EEvT0_S3_S3_T1_bT2_lS3_S3_lbT3_lS3_S3_lS4_T4_lS3_S3_l: ; @_ZN9rocsolver6v33100L11gemm_kernelIdidPdS2_S2_EEvT0_S3_S3_T1_bT2_lS3_S3_lbT3_lS3_S3_lS4_T4_lS3_S3_l
; %bb.0:
	s_load_dword s9, s[4:5], 0x9c
	s_load_dwordx4 s[0:3], s[4:5], 0x0
	v_and_b32_e32 v1, 0x3ff, v0
	v_bfe_u32 v0, v0, 10, 10
	s_waitcnt lgkmcnt(0)
	s_and_b32 s3, s9, 0xffff
	s_lshr_b32 s9, s9, 16
	s_mul_i32 s7, s7, s9
	s_mul_i32 s6, s6, s3
	v_add_u32_e32 v6, s6, v1
	v_add_u32_e32 v7, s7, v0
	v_cmp_gt_i32_e32 vcc, s0, v6
	v_cmp_gt_i32_e64 s[0:1], s1, v7
	s_and_b64 s[0:1], vcc, s[0:1]
	s_and_saveexec_b64 s[6:7], s[0:1]
	s_cbranch_execz .LBB3_6
; %bb.1:
	s_load_dwordx8 s[12:19], s[4:5], 0x60
	s_ashr_i32 s3, s8, 31
	s_cmp_lt_i32 s2, 1
	s_cbranch_scc1 .LBB3_4
; %bb.2:
	s_load_dwordx8 s[20:27], s[4:5], 0x20
	s_load_dwordx2 s[0:1], s[4:5], 0x58
	s_load_dwordx4 s[28:31], s[4:5], 0x48
	s_waitcnt lgkmcnt(0)
	s_mul_i32 s6, s12, s3
	v_mul_lo_u32 v0, v6, s24
	v_mul_lo_u32 v2, v7, s1
	s_mul_hi_u32 s1, s12, s8
	s_add_i32 s1, s1, s6
	s_mul_i32 s6, s13, s8
	s_add_i32 s7, s1, s6
	s_mul_i32 s6, s12, s8
	s_lshl_b64 s[6:7], s[6:7], 3
	s_lshl_b64 s[10:11], s[30:31], 3
	s_add_u32 s1, s6, s10
	s_addc_u32 s6, s7, s11
	s_add_u32 s1, s28, s1
	s_addc_u32 s6, s29, s6
	v_ashrrev_i32_e32 v3, 31, v2
	v_mov_b32_e32 v1, s6
	s_mul_i32 s6, s26, s3
	s_mul_hi_u32 s7, s26, s8
	v_lshlrev_b64 v[2:3], 3, v[2:3]
	s_add_i32 s6, s7, s6
	s_mul_i32 s7, s27, s8
	v_add_co_u32_e32 v2, vcc, s1, v2
	s_ashr_i32 s1, s0, 31
	s_add_i32 s7, s6, s7
	s_mul_i32 s6, s26, s8
	s_lshl_b64 s[0:1], s[0:1], 3
	s_lshl_b64 s[6:7], s[6:7], 3
	;; [unrolled: 1-line block ×3, first 2 shown]
	s_add_u32 s6, s6, s10
	s_addc_u32 s7, s7, s11
	v_addc_co_u32_e32 v3, vcc, v1, v3, vcc
	v_ashrrev_i32_e32 v1, 31, v0
	s_add_u32 s6, s20, s6
	v_lshlrev_b64 v[0:1], 3, v[0:1]
	s_addc_u32 s7, s21, s7
	v_mov_b32_e32 v5, s7
	v_add_co_u32_e32 v4, vcc, s6, v0
	s_ashr_i32 s7, s25, 31
	s_mov_b32 s6, s25
	s_lshl_b64 s[6:7], s[6:7], 3
	v_addc_co_u32_e32 v5, vcc, v5, v1, vcc
	v_pk_mov_b32 v[0:1], 0, 0
	v_mov_b32_e32 v8, s1
	v_mov_b32_e32 v9, s7
.LBB3_3:                                ; =>This Inner Loop Header: Depth=1
	global_load_dwordx2 v[10:11], v[4:5], off
	global_load_dwordx2 v[12:13], v[2:3], off
	v_add_co_u32_e32 v2, vcc, s0, v2
	v_addc_co_u32_e32 v3, vcc, v3, v8, vcc
	v_add_co_u32_e32 v4, vcc, s6, v4
	s_add_i32 s2, s2, -1
	v_addc_co_u32_e32 v5, vcc, v5, v9, vcc
	s_cmp_eq_u32 s2, 0
	s_waitcnt vmcnt(0)
	v_fmac_f64_e32 v[0:1], v[10:11], v[12:13]
	s_cbranch_scc0 .LBB3_3
	s_branch .LBB3_5
.LBB3_4:
	v_pk_mov_b32 v[0:1], 0, 0
.LBB3_5:
	s_load_dwordx4 s[20:23], s[4:5], 0x80
	s_waitcnt lgkmcnt(0)
	s_mul_i32 s1, s8, s23
	s_mul_hi_u32 s2, s8, s22
	s_mul_i32 s3, s3, s22
	s_add_i32 s1, s2, s1
	s_mul_i32 s0, s8, s22
	s_add_i32 s1, s1, s3
	s_lshl_b64 s[0:1], s[0:1], 3
	s_add_u32 s2, s16, s0
	s_addc_u32 s3, s17, s1
	s_lshl_b64 s[0:1], s[18:19], 3
	s_add_u32 s2, s2, s0
	v_mul_lo_u32 v2, v6, s20
	s_addc_u32 s3, s3, s1
	v_mad_u64_u32 v[2:3], s[0:1], v7, s21, v[2:3]
	v_ashrrev_i32_e32 v3, 31, v2
	v_lshlrev_b64 v[2:3], 3, v[2:3]
	v_mov_b32_e32 v4, s3
	v_add_co_u32_e32 v2, vcc, s2, v2
	v_addc_co_u32_e32 v3, vcc, v4, v3, vcc
	global_load_dwordx2 v[4:5], v[2:3], off
	s_load_dwordx2 s[0:1], s[4:5], 0x10
	s_waitcnt vmcnt(0)
	v_mul_f64 v[4:5], v[4:5], s[14:15]
	s_waitcnt lgkmcnt(0)
	v_fmac_f64_e32 v[4:5], s[0:1], v[0:1]
	global_store_dwordx2 v[2:3], v[4:5], off
.LBB3_6:
	s_endpgm
	.section	.rodata,"a",@progbits
	.p2align	6, 0x0
	.amdhsa_kernel _ZN9rocsolver6v33100L11gemm_kernelIdidPdS2_S2_EEvT0_S3_S3_T1_bT2_lS3_S3_lbT3_lS3_S3_lS4_T4_lS3_S3_l
		.amdhsa_group_segment_fixed_size 0
		.amdhsa_private_segment_fixed_size 0
		.amdhsa_kernarg_size 400
		.amdhsa_user_sgpr_count 6
		.amdhsa_user_sgpr_private_segment_buffer 1
		.amdhsa_user_sgpr_dispatch_ptr 0
		.amdhsa_user_sgpr_queue_ptr 0
		.amdhsa_user_sgpr_kernarg_segment_ptr 1
		.amdhsa_user_sgpr_dispatch_id 0
		.amdhsa_user_sgpr_flat_scratch_init 0
		.amdhsa_user_sgpr_kernarg_preload_length 0
		.amdhsa_user_sgpr_kernarg_preload_offset 0
		.amdhsa_user_sgpr_private_segment_size 0
		.amdhsa_uses_dynamic_stack 0
		.amdhsa_system_sgpr_private_segment_wavefront_offset 0
		.amdhsa_system_sgpr_workgroup_id_x 1
		.amdhsa_system_sgpr_workgroup_id_y 1
		.amdhsa_system_sgpr_workgroup_id_z 1
		.amdhsa_system_sgpr_workgroup_info 0
		.amdhsa_system_vgpr_workitem_id 1
		.amdhsa_next_free_vgpr 14
		.amdhsa_next_free_sgpr 32
		.amdhsa_accum_offset 16
		.amdhsa_reserve_vcc 1
		.amdhsa_reserve_flat_scratch 0
		.amdhsa_float_round_mode_32 0
		.amdhsa_float_round_mode_16_64 0
		.amdhsa_float_denorm_mode_32 3
		.amdhsa_float_denorm_mode_16_64 3
		.amdhsa_dx10_clamp 1
		.amdhsa_ieee_mode 1
		.amdhsa_fp16_overflow 0
		.amdhsa_tg_split 0
		.amdhsa_exception_fp_ieee_invalid_op 0
		.amdhsa_exception_fp_denorm_src 0
		.amdhsa_exception_fp_ieee_div_zero 0
		.amdhsa_exception_fp_ieee_overflow 0
		.amdhsa_exception_fp_ieee_underflow 0
		.amdhsa_exception_fp_ieee_inexact 0
		.amdhsa_exception_int_div_zero 0
	.end_amdhsa_kernel
	.section	.text._ZN9rocsolver6v33100L11gemm_kernelIdidPdS2_S2_EEvT0_S3_S3_T1_bT2_lS3_S3_lbT3_lS3_S3_lS4_T4_lS3_S3_l,"axG",@progbits,_ZN9rocsolver6v33100L11gemm_kernelIdidPdS2_S2_EEvT0_S3_S3_T1_bT2_lS3_S3_lbT3_lS3_S3_lS4_T4_lS3_S3_l,comdat
.Lfunc_end3:
	.size	_ZN9rocsolver6v33100L11gemm_kernelIdidPdS2_S2_EEvT0_S3_S3_T1_bT2_lS3_S3_lbT3_lS3_S3_lS4_T4_lS3_S3_l, .Lfunc_end3-_ZN9rocsolver6v33100L11gemm_kernelIdidPdS2_S2_EEvT0_S3_S3_T1_bT2_lS3_S3_lbT3_lS3_S3_lS4_T4_lS3_S3_l
                                        ; -- End function
	.section	.AMDGPU.csdata,"",@progbits
; Kernel info:
; codeLenInByte = 544
; NumSgprs: 36
; NumVgprs: 14
; NumAgprs: 0
; TotalNumVgprs: 14
; ScratchSize: 0
; MemoryBound: 0
; FloatMode: 240
; IeeeMode: 1
; LDSByteSize: 0 bytes/workgroup (compile time only)
; SGPRBlocks: 4
; VGPRBlocks: 1
; NumSGPRsForWavesPerEU: 36
; NumVGPRsForWavesPerEU: 14
; AccumOffset: 16
; Occupancy: 8
; WaveLimiterHint : 1
; COMPUTE_PGM_RSRC2:SCRATCH_EN: 0
; COMPUTE_PGM_RSRC2:USER_SGPR: 6
; COMPUTE_PGM_RSRC2:TRAP_HANDLER: 0
; COMPUTE_PGM_RSRC2:TGID_X_EN: 1
; COMPUTE_PGM_RSRC2:TGID_Y_EN: 1
; COMPUTE_PGM_RSRC2:TGID_Z_EN: 1
; COMPUTE_PGM_RSRC2:TIDIG_COMP_CNT: 1
; COMPUTE_PGM_RSRC3_GFX90A:ACCUM_OFFSET: 3
; COMPUTE_PGM_RSRC3_GFX90A:TG_SPLIT: 0
	.section	.text._ZN9rocsolver6v33100L16mfma_gemm_kernelIdiPKdPKPdS6_S6_EEv18rocblas_operation_S7_T0_S8_S8_T1_T2_lS8_S8_lT3_lS8_S8_lS9_T4_lS8_S8_l,"axG",@progbits,_ZN9rocsolver6v33100L16mfma_gemm_kernelIdiPKdPKPdS6_S6_EEv18rocblas_operation_S7_T0_S8_S8_T1_T2_lS8_S8_lT3_lS8_S8_lS9_T4_lS8_S8_l,comdat
	.globl	_ZN9rocsolver6v33100L16mfma_gemm_kernelIdiPKdPKPdS6_S6_EEv18rocblas_operation_S7_T0_S8_S8_T1_T2_lS8_S8_lT3_lS8_S8_lS9_T4_lS8_S8_l ; -- Begin function _ZN9rocsolver6v33100L16mfma_gemm_kernelIdiPKdPKPdS6_S6_EEv18rocblas_operation_S7_T0_S8_S8_T1_T2_lS8_S8_lT3_lS8_S8_lS9_T4_lS8_S8_l
	.p2align	8
	.type	_ZN9rocsolver6v33100L16mfma_gemm_kernelIdiPKdPKPdS6_S6_EEv18rocblas_operation_S7_T0_S8_S8_T1_T2_lS8_S8_lT3_lS8_S8_lS9_T4_lS8_S8_l,@function
_ZN9rocsolver6v33100L16mfma_gemm_kernelIdiPKdPKPdS6_S6_EEv18rocblas_operation_S7_T0_S8_S8_T1_T2_lS8_S8_lT3_lS8_S8_lS9_T4_lS8_S8_l: ; @_ZN9rocsolver6v33100L16mfma_gemm_kernelIdiPKdPKPdS6_S6_EEv18rocblas_operation_S7_T0_S8_S8_T1_T2_lS8_S8_lT3_lS8_S8_lS9_T4_lS8_S8_l
; %bb.0:
	s_load_dword s0, s[4:5], 0x94
	s_load_dwordx4 s[12:15], s[4:5], 0x0
	v_and_b32_e32 v22, 0x3ff, v0
	v_bfe_u32 v0, v0, 10, 10
	v_lshrrev_b32_e32 v1, 6, v22
	s_waitcnt lgkmcnt(0)
	s_lshr_b32 s1, s0, 16
	s_bfe_u32 s0, s0, 0xa0006
	s_mul_i32 s7, s7, s1
	s_mul_i32 s6, s6, s0
	v_add_u32_e32 v0, s7, v0
	v_add_lshl_u32 v23, s6, v1, 4
	v_lshlrev_b32_e32 v24, 4, v0
	v_cmp_gt_i32_e32 vcc, s14, v23
	v_cmp_gt_i32_e64 s[0:1], s15, v24
	s_and_b64 s[0:1], vcc, s[0:1]
	s_and_saveexec_b64 s[2:3], s[0:1]
	s_cbranch_execz .LBB4_36
; %bb.1:
	s_ashr_i32 s6, s14, 31
	s_lshr_b32 s6, s6, 28
	s_add_i32 s6, s14, s6
	s_and_b32 s6, s6, -16
	s_sub_i32 s6, s14, s6
	v_mov_b32_e32 v1, s6
	s_ashr_i32 s6, s15, 31
	s_load_dword s26, s[4:5], 0x10
	s_load_dwordx4 s[0:3], s[4:5], 0x18
	s_load_dwordx2 s[18:19], s[4:5], 0x70
	s_load_dwordx4 s[20:23], s[4:5], 0x60
	s_lshr_b32 s6, s6, 28
	s_add_i32 s6, s15, s6
	v_add_u32_e32 v0, 16, v23
	s_and_b32 s6, s6, -16
	v_cmp_lt_i32_e32 vcc, s14, v0
	s_sub_i32 s6, s15, s6
	s_ashr_i32 s9, s8, 31
	v_cndmask_b32_e32 v20, 16, v1, vcc
	v_add_u32_e32 v0, 16, v24
	v_mov_b32_e32 v1, s6
	s_lshl_b64 s[6:7], s[8:9], 3
	v_cmp_lt_i32_e32 vcc, s15, v0
	s_waitcnt lgkmcnt(0)
	s_load_dwordx2 s[14:15], s[0:1], 0x0
	s_load_dwordx2 s[16:17], s[20:21], 0x0
	s_add_u32 s0, s22, s6
	s_addc_u32 s1, s23, s7
	s_load_dwordx2 s[20:21], s[0:1], 0x0
	v_cndmask_b32_e32 v25, 16, v1, vcc
	v_bfe_u32 v26, v22, 2, 4
	v_pk_mov_b32 v[6:7], 0, 0
	v_and_b32_e32 v21, 3, v22
	s_cmp_lt_i32 s26, 1
	v_cmp_lt_i32_e64 s[0:1], v26, v25
	v_mbcnt_lo_u32_b32 v27, -1, 0
	v_pk_mov_b32 v[4:5], v[6:7], v[6:7] op_sel:[0,1]
	v_pk_mov_b32 v[2:3], v[6:7], v[6:7] op_sel:[0,1]
	v_pk_mov_b32 v[0:1], v[6:7], v[6:7] op_sel:[0,1]
	s_cbranch_scc1 .LBB4_28
; %bb.2:
	s_add_u32 s2, s2, s6
	s_addc_u32 s3, s3, s7
	s_load_dwordx4 s[8:11], s[4:5], 0x28
	s_load_dwordx2 s[22:23], s[2:3], 0x0
	s_load_dwordx4 s[28:31], s[4:5], 0x40
	s_load_dwordx2 s[34:35], s[4:5], 0x50
	v_and_b32_e32 v2, 63, v22
	s_waitcnt lgkmcnt(0)
	s_lshl_b64 s[2:3], s[8:9], 3
	s_add_u32 s8, s22, s2
	s_addc_u32 s9, s23, s3
	s_add_u32 s2, s28, s6
	s_addc_u32 s3, s29, s7
	s_load_dwordx2 s[2:3], s[2:3], 0x0
	s_lshl_b64 s[6:7], s[30:31], 3
	v_mov_b32_e32 v3, s9
	v_lshrrev_b32_e32 v32, 4, v2
	s_mov_b32 s31, 0
	s_waitcnt lgkmcnt(0)
	s_add_u32 s2, s2, s6
	s_addc_u32 s3, s3, s7
	s_cmpk_lg_i32 s12, 0x6f
	s_cselect_b64 s[22:23], -1, 0
	s_cmpk_eq_i32 s12, 0x6f
	s_cselect_b32 s6, s10, s11
	v_mul_lo_u32 v0, v23, s6
	s_cmpk_lg_i32 s13, 0x6f
	v_ashrrev_i32_e32 v1, 31, v0
	s_cselect_b64 s[24:25], -1, 0
	s_cmpk_eq_i32 s13, 0x6f
	v_lshlrev_b64 v[0:1], 3, v[0:1]
	s_cselect_b32 s6, s35, s34
	v_add_co_u32_e32 v28, vcc, s8, v0
	v_mul_lo_u32 v0, v24, s6
	v_addc_co_u32_e32 v29, vcc, v3, v1, vcc
	v_ashrrev_i32_e32 v1, 31, v0
	v_lshlrev_b64 v[0:1], 3, v[0:1]
	v_mov_b32_e32 v3, s3
	v_add_co_u32_e32 v30, vcc, s2, v0
	v_addc_co_u32_e32 v31, vcc, v3, v1, vcc
	v_and_b32_e32 v1, 15, v22
	v_mul_lo_u32 v0, v1, s10
	v_lshl_or_b32 v3, v1, 2, v32
	v_mul_lo_u32 v2, v1, s34
	v_mad_u64_u32 v[8:9], s[12:13], s11, v32, v[0:1]
	v_mul_lo_u32 v0, s10, v21
	s_lshl_b32 s27, s11, 2
	v_mad_u64_u32 v[10:11], s[12:13], v26, s11, v[0:1]
	s_lshl_b32 s28, s10, 2
	v_mul_lo_u32 v0, s34, v21
	v_mad_u64_u32 v[14:15], s[10:11], s35, v32, v[2:3]
	v_mbcnt_hi_u32_b32 v2, -1, v27
	v_cmp_lt_i32_e64 s[6:7], v1, v20
	v_cmp_lt_i32_e64 s[8:9], v1, v25
	v_mad_u64_u32 v[12:13], s[10:11], v26, s35, v[0:1]
	v_pk_mov_b32 v[0:1], 0, 0
	v_and_or_b32 v2, v2, 64, v3
	v_cmp_lt_i32_e64 s[2:3], v26, v20
	s_lshl_b32 s29, s34, 2
	s_lshl_b32 s30, s35, 2
	v_lshlrev_b32_e32 v33, 2, v2
	v_pk_mov_b32 v[2:3], v[0:1], v[0:1] op_sel:[0,1]
	v_pk_mov_b32 v[4:5], v[0:1], v[0:1] op_sel:[0,1]
	;; [unrolled: 1-line block ×3, first 2 shown]
	s_branch .LBB4_6
.LBB4_3:                                ;   in Loop: Header=BB4_6 Depth=1
	s_or_b64 exec, exec, s[12:13]
.LBB4_4:                                ;   in Loop: Header=BB4_6 Depth=1
	s_or_b64 exec, exec, s[10:11]
	s_waitcnt vmcnt(0)
	ds_bpermute_b32 v18, v33, v18
	ds_bpermute_b32 v19, v33, v19
.LBB4_5:                                ;   in Loop: Header=BB4_6 Depth=1
	s_waitcnt vmcnt(0) lgkmcnt(0)
	v_mfma_f64_16x16x4f64 v[0:7], v[16:17], v[18:19], v[0:7]
	s_add_i32 s31, s31, 4
	s_cmp_ge_i32 s31, s26
	v_add_u32_e32 v8, s27, v8
	v_add_u32_e32 v10, s28, v10
	;; [unrolled: 1-line block ×4, first 2 shown]
	s_cbranch_scc1 .LBB4_28
.LBB4_6:                                ; =>This Inner Loop Header: Depth=1
	s_and_b64 vcc, exec, s[22:23]
	s_cbranch_vccz .LBB4_18
; %bb.7:                                ;   in Loop: Header=BB4_6 Depth=1
	v_pk_mov_b32 v[16:17], 0, 0
	s_and_saveexec_b64 s[10:11], s[2:3]
	s_cbranch_execz .LBB4_11
; %bb.8:                                ;   in Loop: Header=BB4_6 Depth=1
	v_add_u32_e32 v9, s31, v21
	v_cmp_gt_i32_e32 vcc, s26, v9
	v_pk_mov_b32 v[16:17], 0, 0
	s_and_saveexec_b64 s[12:13], vcc
	s_cbranch_execz .LBB4_10
; %bb.9:                                ;   in Loop: Header=BB4_6 Depth=1
	v_ashrrev_i32_e32 v11, 31, v10
	v_lshlrev_b64 v[16:17], 3, v[10:11]
	v_add_co_u32_e32 v16, vcc, v28, v16
	v_addc_co_u32_e32 v17, vcc, v29, v17, vcc
	global_load_dwordx2 v[16:17], v[16:17], off
.LBB4_10:                               ;   in Loop: Header=BB4_6 Depth=1
	s_or_b64 exec, exec, s[12:13]
.LBB4_11:                               ;   in Loop: Header=BB4_6 Depth=1
	s_or_b64 exec, exec, s[10:11]
	s_waitcnt vmcnt(0)
	ds_bpermute_b32 v16, v33, v16
	ds_bpermute_b32 v17, v33, v17
.LBB4_12:                               ;   in Loop: Header=BB4_6 Depth=1
	s_and_b64 vcc, exec, s[24:25]
	s_cbranch_vccz .LBB4_24
.LBB4_13:                               ;   in Loop: Header=BB4_6 Depth=1
	v_pk_mov_b32 v[18:19], 0, 0
	s_and_saveexec_b64 s[10:11], s[8:9]
	s_cbranch_execz .LBB4_17
; %bb.14:                               ;   in Loop: Header=BB4_6 Depth=1
	v_add_u32_e32 v9, s31, v32
	v_cmp_gt_i32_e32 vcc, s26, v9
	v_pk_mov_b32 v[18:19], 0, 0
	s_and_saveexec_b64 s[12:13], vcc
	s_cbranch_execz .LBB4_16
; %bb.15:                               ;   in Loop: Header=BB4_6 Depth=1
	v_ashrrev_i32_e32 v15, 31, v14
	v_lshlrev_b64 v[18:19], 3, v[14:15]
	v_add_co_u32_e32 v18, vcc, v30, v18
	v_addc_co_u32_e32 v19, vcc, v31, v19, vcc
	global_load_dwordx2 v[18:19], v[18:19], off
.LBB4_16:                               ;   in Loop: Header=BB4_6 Depth=1
	s_or_b64 exec, exec, s[12:13]
.LBB4_17:                               ;   in Loop: Header=BB4_6 Depth=1
	s_or_b64 exec, exec, s[10:11]
	s_cbranch_execnz .LBB4_5
	s_branch .LBB4_25
.LBB4_18:                               ;   in Loop: Header=BB4_6 Depth=1
                                        ; implicit-def: $vgpr16_vgpr17
	s_cbranch_execz .LBB4_12
; %bb.19:                               ;   in Loop: Header=BB4_6 Depth=1
	s_waitcnt lgkmcnt(0)
	v_pk_mov_b32 v[16:17], 0, 0
	s_and_saveexec_b64 s[10:11], s[6:7]
	s_cbranch_execz .LBB4_23
; %bb.20:                               ;   in Loop: Header=BB4_6 Depth=1
	v_add_u32_e32 v9, s31, v32
	v_cmp_gt_i32_e32 vcc, s26, v9
	v_pk_mov_b32 v[16:17], 0, 0
	s_and_saveexec_b64 s[12:13], vcc
	s_cbranch_execz .LBB4_22
; %bb.21:                               ;   in Loop: Header=BB4_6 Depth=1
	v_ashrrev_i32_e32 v9, 31, v8
	v_lshlrev_b64 v[16:17], 3, v[8:9]
	v_add_co_u32_e32 v16, vcc, v28, v16
	v_addc_co_u32_e32 v17, vcc, v29, v17, vcc
	global_load_dwordx2 v[16:17], v[16:17], off
.LBB4_22:                               ;   in Loop: Header=BB4_6 Depth=1
	s_or_b64 exec, exec, s[12:13]
.LBB4_23:                               ;   in Loop: Header=BB4_6 Depth=1
	s_or_b64 exec, exec, s[10:11]
	s_and_b64 vcc, exec, s[24:25]
	s_cbranch_vccnz .LBB4_13
.LBB4_24:                               ;   in Loop: Header=BB4_6 Depth=1
                                        ; implicit-def: $vgpr18_vgpr19
.LBB4_25:                               ;   in Loop: Header=BB4_6 Depth=1
	s_waitcnt vmcnt(0)
	v_pk_mov_b32 v[18:19], 0, 0
	s_and_saveexec_b64 s[10:11], s[0:1]
	s_cbranch_execz .LBB4_4
; %bb.26:                               ;   in Loop: Header=BB4_6 Depth=1
	v_add_u32_e32 v9, s31, v21
	v_cmp_gt_i32_e32 vcc, s26, v9
	v_pk_mov_b32 v[18:19], 0, 0
	s_and_saveexec_b64 s[12:13], vcc
	s_cbranch_execz .LBB4_3
; %bb.27:                               ;   in Loop: Header=BB4_6 Depth=1
	v_ashrrev_i32_e32 v13, 31, v12
	v_lshlrev_b64 v[18:19], 3, v[12:13]
	v_add_co_u32_e32 v18, vcc, v30, v18
	v_addc_co_u32_e32 v19, vcc, v31, v19, vcc
	global_load_dwordx2 v[18:19], v[18:19], off
	s_branch .LBB4_3
.LBB4_28:
	s_load_dwordx2 s[2:3], s[4:5], 0x78
	s_lshl_b64 s[0:1], s[18:19], 3
	s_waitcnt lgkmcnt(0)
	s_add_u32 s4, s20, s0
	s_addc_u32 s5, s21, s1
	v_mov_b32_e32 v11, s5
	v_mul_lo_u32 v8, v23, s2
	v_mad_u64_u32 v[8:9], s[0:1], v24, s3, v[8:9]
	v_ashrrev_i32_e32 v9, 31, v8
	v_lshlrev_b64 v[8:9], 3, v[8:9]
	v_add_co_u32_e32 v10, vcc, s4, v8
	v_addc_co_u32_e32 v11, vcc, v11, v9, vcc
	v_lshlrev_b32_e32 v8, 4, v22
	v_mbcnt_hi_u32_b32 v9, -1, v27
	v_and_b32_e32 v8, 48, v8
	v_and_b32_e32 v9, 64, v9
	v_or3_b32 v8, v8, v9, v26
	v_lshlrev_b32_e32 v12, 2, v8
	ds_bpermute_b32 v8, v12, v0
	ds_bpermute_b32 v9, v12, v1
	v_cmp_lt_i32_e32 vcc, v26, v25
	v_cmp_lt_i32_e64 s[0:1], v21, v20
	v_mul_lo_u32 v0, v26, s3
	s_and_b64 s[0:1], vcc, s[0:1]
	s_and_saveexec_b64 s[4:5], s[0:1]
	s_cbranch_execz .LBB4_30
; %bb.29:
	v_mad_u64_u32 v[14:15], s[0:1], v21, s2, v[0:1]
	v_ashrrev_i32_e32 v15, 31, v14
	v_lshlrev_b64 v[14:15], 3, v[14:15]
	v_add_co_u32_e64 v14, s[0:1], v10, v14
	v_addc_co_u32_e64 v15, s[0:1], v11, v15, s[0:1]
	global_load_dwordx2 v[16:17], v[14:15], off
	s_waitcnt vmcnt(0)
	v_mul_f64 v[16:17], s[16:17], v[16:17]
	s_waitcnt lgkmcnt(0)
	v_fmac_f64_e32 v[16:17], s[14:15], v[8:9]
	global_store_dwordx2 v[14:15], v[16:17], off
.LBB4_30:
	s_or_b64 exec, exec, s[4:5]
	ds_bpermute_b32 v2, v12, v2
	ds_bpermute_b32 v3, v12, v3
	v_or_b32_e32 v1, 4, v21
	v_cmp_lt_i32_e64 s[0:1], v1, v20
	s_and_b64 s[0:1], vcc, s[0:1]
	s_and_saveexec_b64 s[4:5], s[0:1]
	s_cbranch_execz .LBB4_32
; %bb.31:
	s_waitcnt lgkmcnt(2)
	v_mad_u64_u32 v[8:9], s[0:1], v1, s2, v[0:1]
	v_ashrrev_i32_e32 v9, 31, v8
	v_lshlrev_b64 v[8:9], 3, v[8:9]
	v_add_co_u32_e64 v8, s[0:1], v10, v8
	v_addc_co_u32_e64 v9, s[0:1], v11, v9, s[0:1]
	global_load_dwordx2 v[14:15], v[8:9], off
	s_waitcnt vmcnt(0)
	v_mul_f64 v[14:15], s[16:17], v[14:15]
	s_waitcnt lgkmcnt(0)
	v_fmac_f64_e32 v[14:15], s[14:15], v[2:3]
	global_store_dwordx2 v[8:9], v[14:15], off
.LBB4_32:
	s_or_b64 exec, exec, s[4:5]
	s_waitcnt lgkmcnt(1)
	ds_bpermute_b32 v2, v12, v4
	s_waitcnt lgkmcnt(1)
	ds_bpermute_b32 v3, v12, v5
	v_or_b32_e32 v1, 8, v21
	v_cmp_lt_i32_e64 s[0:1], v1, v20
	s_and_b64 s[0:1], vcc, s[0:1]
	s_and_saveexec_b64 s[4:5], s[0:1]
	s_cbranch_execz .LBB4_34
; %bb.33:
	v_mad_u64_u32 v[4:5], s[0:1], v1, s2, v[0:1]
	v_ashrrev_i32_e32 v5, 31, v4
	v_lshlrev_b64 v[4:5], 3, v[4:5]
	v_add_co_u32_e64 v4, s[0:1], v10, v4
	v_addc_co_u32_e64 v5, s[0:1], v11, v5, s[0:1]
	global_load_dwordx2 v[8:9], v[4:5], off
	s_waitcnt vmcnt(0)
	v_mul_f64 v[8:9], s[16:17], v[8:9]
	s_waitcnt lgkmcnt(0)
	v_fmac_f64_e32 v[8:9], s[14:15], v[2:3]
	global_store_dwordx2 v[4:5], v[8:9], off
.LBB4_34:
	s_or_b64 exec, exec, s[4:5]
	s_waitcnt lgkmcnt(1)
	ds_bpermute_b32 v2, v12, v6
	s_waitcnt lgkmcnt(1)
	ds_bpermute_b32 v3, v12, v7
	v_or_b32_e32 v1, 12, v21
	v_cmp_lt_i32_e64 s[0:1], v1, v20
	s_and_b64 s[0:1], vcc, s[0:1]
	s_and_b64 exec, exec, s[0:1]
	s_cbranch_execz .LBB4_36
; %bb.35:
	v_mad_u64_u32 v[0:1], s[0:1], v1, s2, v[0:1]
	v_ashrrev_i32_e32 v1, 31, v0
	v_lshlrev_b64 v[0:1], 3, v[0:1]
	v_add_co_u32_e32 v0, vcc, v10, v0
	v_addc_co_u32_e32 v1, vcc, v11, v1, vcc
	global_load_dwordx2 v[4:5], v[0:1], off
	s_waitcnt vmcnt(0)
	v_mul_f64 v[4:5], s[16:17], v[4:5]
	s_waitcnt lgkmcnt(0)
	v_fmac_f64_e32 v[4:5], s[14:15], v[2:3]
	global_store_dwordx2 v[0:1], v[4:5], off
.LBB4_36:
	s_endpgm
	.section	.rodata,"a",@progbits
	.p2align	6, 0x0
	.amdhsa_kernel _ZN9rocsolver6v33100L16mfma_gemm_kernelIdiPKdPKPdS6_S6_EEv18rocblas_operation_S7_T0_S8_S8_T1_T2_lS8_S8_lT3_lS8_S8_lS9_T4_lS8_S8_l
		.amdhsa_group_segment_fixed_size 0
		.amdhsa_private_segment_fixed_size 0
		.amdhsa_kernarg_size 392
		.amdhsa_user_sgpr_count 6
		.amdhsa_user_sgpr_private_segment_buffer 1
		.amdhsa_user_sgpr_dispatch_ptr 0
		.amdhsa_user_sgpr_queue_ptr 0
		.amdhsa_user_sgpr_kernarg_segment_ptr 1
		.amdhsa_user_sgpr_dispatch_id 0
		.amdhsa_user_sgpr_flat_scratch_init 0
		.amdhsa_user_sgpr_kernarg_preload_length 0
		.amdhsa_user_sgpr_kernarg_preload_offset 0
		.amdhsa_user_sgpr_private_segment_size 0
		.amdhsa_uses_dynamic_stack 0
		.amdhsa_system_sgpr_private_segment_wavefront_offset 0
		.amdhsa_system_sgpr_workgroup_id_x 1
		.amdhsa_system_sgpr_workgroup_id_y 1
		.amdhsa_system_sgpr_workgroup_id_z 1
		.amdhsa_system_sgpr_workgroup_info 0
		.amdhsa_system_vgpr_workitem_id 1
		.amdhsa_next_free_vgpr 34
		.amdhsa_next_free_sgpr 36
		.amdhsa_accum_offset 36
		.amdhsa_reserve_vcc 1
		.amdhsa_reserve_flat_scratch 0
		.amdhsa_float_round_mode_32 0
		.amdhsa_float_round_mode_16_64 0
		.amdhsa_float_denorm_mode_32 3
		.amdhsa_float_denorm_mode_16_64 3
		.amdhsa_dx10_clamp 1
		.amdhsa_ieee_mode 1
		.amdhsa_fp16_overflow 0
		.amdhsa_tg_split 0
		.amdhsa_exception_fp_ieee_invalid_op 0
		.amdhsa_exception_fp_denorm_src 0
		.amdhsa_exception_fp_ieee_div_zero 0
		.amdhsa_exception_fp_ieee_overflow 0
		.amdhsa_exception_fp_ieee_underflow 0
		.amdhsa_exception_fp_ieee_inexact 0
		.amdhsa_exception_int_div_zero 0
	.end_amdhsa_kernel
	.section	.text._ZN9rocsolver6v33100L16mfma_gemm_kernelIdiPKdPKPdS6_S6_EEv18rocblas_operation_S7_T0_S8_S8_T1_T2_lS8_S8_lT3_lS8_S8_lS9_T4_lS8_S8_l,"axG",@progbits,_ZN9rocsolver6v33100L16mfma_gemm_kernelIdiPKdPKPdS6_S6_EEv18rocblas_operation_S7_T0_S8_S8_T1_T2_lS8_S8_lT3_lS8_S8_lS9_T4_lS8_S8_l,comdat
.Lfunc_end4:
	.size	_ZN9rocsolver6v33100L16mfma_gemm_kernelIdiPKdPKPdS6_S6_EEv18rocblas_operation_S7_T0_S8_S8_T1_T2_lS8_S8_lT3_lS8_S8_lS9_T4_lS8_S8_l, .Lfunc_end4-_ZN9rocsolver6v33100L16mfma_gemm_kernelIdiPKdPKPdS6_S6_EEv18rocblas_operation_S7_T0_S8_S8_T1_T2_lS8_S8_lT3_lS8_S8_lS9_T4_lS8_S8_l
                                        ; -- End function
	.section	.AMDGPU.csdata,"",@progbits
; Kernel info:
; codeLenInByte = 1696
; NumSgprs: 40
; NumVgprs: 34
; NumAgprs: 0
; TotalNumVgprs: 34
; ScratchSize: 0
; MemoryBound: 0
; FloatMode: 240
; IeeeMode: 1
; LDSByteSize: 0 bytes/workgroup (compile time only)
; SGPRBlocks: 4
; VGPRBlocks: 4
; NumSGPRsForWavesPerEU: 40
; NumVGPRsForWavesPerEU: 34
; AccumOffset: 36
; Occupancy: 8
; WaveLimiterHint : 1
; COMPUTE_PGM_RSRC2:SCRATCH_EN: 0
; COMPUTE_PGM_RSRC2:USER_SGPR: 6
; COMPUTE_PGM_RSRC2:TRAP_HANDLER: 0
; COMPUTE_PGM_RSRC2:TGID_X_EN: 1
; COMPUTE_PGM_RSRC2:TGID_Y_EN: 1
; COMPUTE_PGM_RSRC2:TGID_Z_EN: 1
; COMPUTE_PGM_RSRC2:TIDIG_COMP_CNT: 1
; COMPUTE_PGM_RSRC3_GFX90A:ACCUM_OFFSET: 8
; COMPUTE_PGM_RSRC3_GFX90A:TG_SPLIT: 0
	.section	.text._ZN9rocsolver6v33100L16mfma_gemm_kernelIdidPKPdS4_S4_EEv18rocblas_operation_S5_T0_S6_S6_T1_T2_lS6_S6_lT3_lS6_S6_lS7_T4_lS6_S6_l,"axG",@progbits,_ZN9rocsolver6v33100L16mfma_gemm_kernelIdidPKPdS4_S4_EEv18rocblas_operation_S5_T0_S6_S6_T1_T2_lS6_S6_lT3_lS6_S6_lS7_T4_lS6_S6_l,comdat
	.globl	_ZN9rocsolver6v33100L16mfma_gemm_kernelIdidPKPdS4_S4_EEv18rocblas_operation_S5_T0_S6_S6_T1_T2_lS6_S6_lT3_lS6_S6_lS7_T4_lS6_S6_l ; -- Begin function _ZN9rocsolver6v33100L16mfma_gemm_kernelIdidPKPdS4_S4_EEv18rocblas_operation_S5_T0_S6_S6_T1_T2_lS6_S6_lT3_lS6_S6_lS7_T4_lS6_S6_l
	.p2align	8
	.type	_ZN9rocsolver6v33100L16mfma_gemm_kernelIdidPKPdS4_S4_EEv18rocblas_operation_S5_T0_S6_S6_T1_T2_lS6_S6_lT3_lS6_S6_lS7_T4_lS6_S6_l,@function
_ZN9rocsolver6v33100L16mfma_gemm_kernelIdidPKPdS4_S4_EEv18rocblas_operation_S5_T0_S6_S6_T1_T2_lS6_S6_lT3_lS6_S6_lS7_T4_lS6_S6_l: ; @_ZN9rocsolver6v33100L16mfma_gemm_kernelIdidPKPdS4_S4_EEv18rocblas_operation_S5_T0_S6_S6_T1_T2_lS6_S6_lT3_lS6_S6_lS7_T4_lS6_S6_l
; %bb.0:
	s_load_dword s0, s[4:5], 0x94
	s_load_dwordx4 s[20:23], s[4:5], 0x0
	v_and_b32_e32 v22, 0x3ff, v0
	v_bfe_u32 v0, v0, 10, 10
	v_lshrrev_b32_e32 v1, 6, v22
	s_waitcnt lgkmcnt(0)
	s_lshr_b32 s1, s0, 16
	s_bfe_u32 s0, s0, 0xa0006
	s_mul_i32 s7, s7, s1
	s_mul_i32 s6, s6, s0
	v_add_u32_e32 v0, s7, v0
	v_add_lshl_u32 v23, s6, v1, 4
	v_lshlrev_b32_e32 v24, 4, v0
	v_cmp_gt_i32_e32 vcc, s22, v23
	v_cmp_gt_i32_e64 s[0:1], s23, v24
	s_and_b64 s[0:1], vcc, s[0:1]
	s_and_saveexec_b64 s[2:3], s[0:1]
	s_cbranch_execz .LBB5_36
; %bb.1:
	s_ashr_i32 s0, s22, 31
	s_lshr_b32 s0, s0, 28
	s_add_i32 s0, s22, s0
	s_and_b32 s0, s0, -16
	s_sub_i32 s0, s22, s0
	s_load_dword s26, s[4:5], 0x10
	s_load_dwordx4 s[12:15], s[4:5], 0x18
	s_load_dwordx2 s[10:11], s[4:5], 0x70
	s_load_dwordx2 s[2:3], s[4:5], 0x28
	s_load_dwordx4 s[16:19], s[4:5], 0x60
	v_mov_b32_e32 v1, s0
	s_ashr_i32 s0, s23, 31
	s_lshr_b32 s0, s0, 28
	s_add_i32 s0, s23, s0
	v_add_u32_e32 v0, 16, v23
	s_and_b32 s0, s0, -16
	s_ashr_i32 s9, s8, 31
	v_cmp_lt_i32_e32 vcc, s22, v0
	s_sub_i32 s0, s23, s0
	s_lshl_b64 s[6:7], s[8:9], 3
	v_cndmask_b32_e32 v20, 16, v1, vcc
	v_mov_b32_e32 v1, s0
	s_waitcnt lgkmcnt(0)
	s_add_u32 s0, s18, s6
	s_addc_u32 s1, s19, s7
	s_load_dwordx2 s[18:19], s[0:1], 0x0
	v_add_u32_e32 v0, 16, v24
	v_cmp_lt_i32_e32 vcc, s23, v0
	v_cndmask_b32_e32 v25, 16, v1, vcc
	v_bfe_u32 v26, v22, 2, 4
	v_pk_mov_b32 v[6:7], 0, 0
	v_and_b32_e32 v21, 3, v22
	s_cmp_lt_i32 s26, 1
	v_cmp_lt_i32_e64 s[0:1], v26, v25
	v_mbcnt_lo_u32_b32 v27, -1, 0
	v_pk_mov_b32 v[4:5], v[6:7], v[6:7] op_sel:[0,1]
	v_pk_mov_b32 v[2:3], v[6:7], v[6:7] op_sel:[0,1]
	;; [unrolled: 1-line block ×3, first 2 shown]
	s_cbranch_scc1 .LBB5_28
; %bb.2:
	s_add_u32 s8, s14, s6
	s_addc_u32 s9, s15, s7
	s_load_dwordx2 s[14:15], s[8:9], 0x0
	s_load_dwordx4 s[28:31], s[4:5], 0x40
	s_load_dwordx2 s[24:25], s[4:5], 0x30
	s_lshl_b64 s[2:3], s[2:3], 3
	s_load_dwordx2 s[34:35], s[4:5], 0x50
	s_waitcnt lgkmcnt(0)
	s_add_u32 s8, s14, s2
	s_addc_u32 s9, s15, s3
	s_add_u32 s2, s28, s6
	s_addc_u32 s3, s29, s7
	s_load_dwordx2 s[2:3], s[2:3], 0x0
	s_lshl_b64 s[6:7], s[30:31], 3
	v_mov_b32_e32 v3, s9
	v_and_b32_e32 v2, 63, v22
	v_lshrrev_b32_e32 v32, 4, v2
	s_waitcnt lgkmcnt(0)
	s_add_u32 s2, s2, s6
	s_addc_u32 s3, s3, s7
	s_cmpk_lg_i32 s20, 0x6f
	s_cselect_b64 s[14:15], -1, 0
	s_cmpk_eq_i32 s20, 0x6f
	s_cselect_b32 s6, s24, s25
	v_mul_lo_u32 v0, v23, s6
	s_cmpk_lg_i32 s21, 0x6f
	v_ashrrev_i32_e32 v1, 31, v0
	s_cselect_b64 s[22:23], -1, 0
	s_cmpk_eq_i32 s21, 0x6f
	v_lshlrev_b64 v[0:1], 3, v[0:1]
	s_cselect_b32 s6, s35, s34
	v_add_co_u32_e32 v28, vcc, s8, v0
	v_mul_lo_u32 v0, v24, s6
	v_addc_co_u32_e32 v29, vcc, v3, v1, vcc
	v_ashrrev_i32_e32 v1, 31, v0
	v_lshlrev_b64 v[0:1], 3, v[0:1]
	v_mov_b32_e32 v3, s3
	v_add_co_u32_e32 v30, vcc, s2, v0
	v_addc_co_u32_e32 v31, vcc, v3, v1, vcc
	v_and_b32_e32 v1, 15, v22
	v_mul_lo_u32 v0, v1, s24
	v_lshl_or_b32 v3, v1, 2, v32
	v_mul_lo_u32 v2, v1, s34
	v_mad_u64_u32 v[8:9], s[20:21], s25, v32, v[0:1]
	v_mul_lo_u32 v0, s24, v21
	v_mad_u64_u32 v[10:11], s[20:21], v26, s25, v[0:1]
	;; [unrolled: 2-line block ×3, first 2 shown]
	v_mbcnt_hi_u32_b32 v2, -1, v27
	v_cmp_lt_i32_e64 s[6:7], v1, v20
	v_cmp_lt_i32_e64 s[8:9], v1, v25
	v_mad_u64_u32 v[12:13], s[20:21], v26, s35, v[0:1]
	v_pk_mov_b32 v[0:1], 0, 0
	v_and_or_b32 v2, v2, 64, v3
	v_cmp_lt_i32_e64 s[2:3], v26, v20
	s_lshl_b32 s27, s25, 2
	s_lshl_b32 s28, s24, 2
	;; [unrolled: 1-line block ×4, first 2 shown]
	s_mov_b32 s31, 0
	v_lshlrev_b32_e32 v33, 2, v2
	v_pk_mov_b32 v[2:3], v[0:1], v[0:1] op_sel:[0,1]
	v_pk_mov_b32 v[4:5], v[0:1], v[0:1] op_sel:[0,1]
	;; [unrolled: 1-line block ×3, first 2 shown]
	s_branch .LBB5_6
.LBB5_3:                                ;   in Loop: Header=BB5_6 Depth=1
	s_or_b64 exec, exec, s[24:25]
.LBB5_4:                                ;   in Loop: Header=BB5_6 Depth=1
	s_or_b64 exec, exec, s[20:21]
	s_waitcnt vmcnt(0)
	ds_bpermute_b32 v18, v33, v18
	ds_bpermute_b32 v19, v33, v19
.LBB5_5:                                ;   in Loop: Header=BB5_6 Depth=1
	s_waitcnt vmcnt(0) lgkmcnt(0)
	v_mfma_f64_16x16x4f64 v[0:7], v[16:17], v[18:19], v[0:7]
	s_add_i32 s31, s31, 4
	s_cmp_ge_i32 s31, s26
	v_add_u32_e32 v8, s27, v8
	v_add_u32_e32 v10, s28, v10
	;; [unrolled: 1-line block ×4, first 2 shown]
	s_cbranch_scc1 .LBB5_28
.LBB5_6:                                ; =>This Inner Loop Header: Depth=1
	s_and_b64 vcc, exec, s[14:15]
	s_cbranch_vccz .LBB5_18
; %bb.7:                                ;   in Loop: Header=BB5_6 Depth=1
	v_pk_mov_b32 v[16:17], 0, 0
	s_and_saveexec_b64 s[20:21], s[2:3]
	s_cbranch_execz .LBB5_11
; %bb.8:                                ;   in Loop: Header=BB5_6 Depth=1
	v_add_u32_e32 v9, s31, v21
	v_cmp_gt_i32_e32 vcc, s26, v9
	v_pk_mov_b32 v[16:17], 0, 0
	s_and_saveexec_b64 s[24:25], vcc
	s_cbranch_execz .LBB5_10
; %bb.9:                                ;   in Loop: Header=BB5_6 Depth=1
	v_ashrrev_i32_e32 v11, 31, v10
	v_lshlrev_b64 v[16:17], 3, v[10:11]
	v_add_co_u32_e32 v16, vcc, v28, v16
	v_addc_co_u32_e32 v17, vcc, v29, v17, vcc
	global_load_dwordx2 v[16:17], v[16:17], off
.LBB5_10:                               ;   in Loop: Header=BB5_6 Depth=1
	s_or_b64 exec, exec, s[24:25]
.LBB5_11:                               ;   in Loop: Header=BB5_6 Depth=1
	s_or_b64 exec, exec, s[20:21]
	s_waitcnt vmcnt(0)
	ds_bpermute_b32 v16, v33, v16
	ds_bpermute_b32 v17, v33, v17
.LBB5_12:                               ;   in Loop: Header=BB5_6 Depth=1
	s_and_b64 vcc, exec, s[22:23]
	s_cbranch_vccz .LBB5_24
.LBB5_13:                               ;   in Loop: Header=BB5_6 Depth=1
	v_pk_mov_b32 v[18:19], 0, 0
	s_and_saveexec_b64 s[20:21], s[8:9]
	s_cbranch_execz .LBB5_17
; %bb.14:                               ;   in Loop: Header=BB5_6 Depth=1
	v_add_u32_e32 v9, s31, v32
	v_cmp_gt_i32_e32 vcc, s26, v9
	v_pk_mov_b32 v[18:19], 0, 0
	s_and_saveexec_b64 s[24:25], vcc
	s_cbranch_execz .LBB5_16
; %bb.15:                               ;   in Loop: Header=BB5_6 Depth=1
	v_ashrrev_i32_e32 v15, 31, v14
	v_lshlrev_b64 v[18:19], 3, v[14:15]
	v_add_co_u32_e32 v18, vcc, v30, v18
	v_addc_co_u32_e32 v19, vcc, v31, v19, vcc
	global_load_dwordx2 v[18:19], v[18:19], off
.LBB5_16:                               ;   in Loop: Header=BB5_6 Depth=1
	s_or_b64 exec, exec, s[24:25]
.LBB5_17:                               ;   in Loop: Header=BB5_6 Depth=1
	s_or_b64 exec, exec, s[20:21]
	s_cbranch_execnz .LBB5_5
	s_branch .LBB5_25
.LBB5_18:                               ;   in Loop: Header=BB5_6 Depth=1
                                        ; implicit-def: $vgpr16_vgpr17
	s_cbranch_execz .LBB5_12
; %bb.19:                               ;   in Loop: Header=BB5_6 Depth=1
	s_waitcnt lgkmcnt(0)
	v_pk_mov_b32 v[16:17], 0, 0
	s_and_saveexec_b64 s[20:21], s[6:7]
	s_cbranch_execz .LBB5_23
; %bb.20:                               ;   in Loop: Header=BB5_6 Depth=1
	v_add_u32_e32 v9, s31, v32
	v_cmp_gt_i32_e32 vcc, s26, v9
	v_pk_mov_b32 v[16:17], 0, 0
	s_and_saveexec_b64 s[24:25], vcc
	s_cbranch_execz .LBB5_22
; %bb.21:                               ;   in Loop: Header=BB5_6 Depth=1
	v_ashrrev_i32_e32 v9, 31, v8
	v_lshlrev_b64 v[16:17], 3, v[8:9]
	v_add_co_u32_e32 v16, vcc, v28, v16
	v_addc_co_u32_e32 v17, vcc, v29, v17, vcc
	global_load_dwordx2 v[16:17], v[16:17], off
.LBB5_22:                               ;   in Loop: Header=BB5_6 Depth=1
	s_or_b64 exec, exec, s[24:25]
.LBB5_23:                               ;   in Loop: Header=BB5_6 Depth=1
	s_or_b64 exec, exec, s[20:21]
	s_and_b64 vcc, exec, s[22:23]
	s_cbranch_vccnz .LBB5_13
.LBB5_24:                               ;   in Loop: Header=BB5_6 Depth=1
                                        ; implicit-def: $vgpr18_vgpr19
.LBB5_25:                               ;   in Loop: Header=BB5_6 Depth=1
	s_waitcnt vmcnt(0)
	v_pk_mov_b32 v[18:19], 0, 0
	s_and_saveexec_b64 s[20:21], s[0:1]
	s_cbranch_execz .LBB5_4
; %bb.26:                               ;   in Loop: Header=BB5_6 Depth=1
	v_add_u32_e32 v9, s31, v21
	v_cmp_gt_i32_e32 vcc, s26, v9
	v_pk_mov_b32 v[18:19], 0, 0
	s_and_saveexec_b64 s[24:25], vcc
	s_cbranch_execz .LBB5_3
; %bb.27:                               ;   in Loop: Header=BB5_6 Depth=1
	v_ashrrev_i32_e32 v13, 31, v12
	v_lshlrev_b64 v[18:19], 3, v[12:13]
	v_add_co_u32_e32 v18, vcc, v30, v18
	v_addc_co_u32_e32 v19, vcc, v31, v19, vcc
	global_load_dwordx2 v[18:19], v[18:19], off
	s_branch .LBB5_3
.LBB5_28:
	s_load_dwordx2 s[2:3], s[4:5], 0x78
	s_lshl_b64 s[0:1], s[10:11], 3
	s_waitcnt lgkmcnt(0)
	s_add_u32 s4, s18, s0
	s_addc_u32 s5, s19, s1
	v_mov_b32_e32 v11, s5
	v_mul_lo_u32 v8, v23, s2
	v_mad_u64_u32 v[8:9], s[0:1], v24, s3, v[8:9]
	v_ashrrev_i32_e32 v9, 31, v8
	v_lshlrev_b64 v[8:9], 3, v[8:9]
	v_add_co_u32_e32 v10, vcc, s4, v8
	v_addc_co_u32_e32 v11, vcc, v11, v9, vcc
	v_lshlrev_b32_e32 v8, 4, v22
	v_mbcnt_hi_u32_b32 v9, -1, v27
	v_and_b32_e32 v8, 48, v8
	v_and_b32_e32 v9, 64, v9
	v_or3_b32 v8, v8, v9, v26
	v_lshlrev_b32_e32 v12, 2, v8
	ds_bpermute_b32 v8, v12, v0
	ds_bpermute_b32 v9, v12, v1
	v_cmp_lt_i32_e32 vcc, v26, v25
	v_cmp_lt_i32_e64 s[0:1], v21, v20
	v_mul_lo_u32 v0, v26, s3
	s_and_b64 s[0:1], vcc, s[0:1]
	s_and_saveexec_b64 s[4:5], s[0:1]
	s_cbranch_execz .LBB5_30
; %bb.29:
	v_mad_u64_u32 v[14:15], s[0:1], v21, s2, v[0:1]
	v_ashrrev_i32_e32 v15, 31, v14
	v_lshlrev_b64 v[14:15], 3, v[14:15]
	v_add_co_u32_e64 v14, s[0:1], v10, v14
	v_addc_co_u32_e64 v15, s[0:1], v11, v15, s[0:1]
	global_load_dwordx2 v[16:17], v[14:15], off
	s_waitcnt vmcnt(0)
	v_mul_f64 v[16:17], v[16:17], s[16:17]
	s_waitcnt lgkmcnt(0)
	v_fmac_f64_e32 v[16:17], s[12:13], v[8:9]
	global_store_dwordx2 v[14:15], v[16:17], off
.LBB5_30:
	s_or_b64 exec, exec, s[4:5]
	ds_bpermute_b32 v2, v12, v2
	ds_bpermute_b32 v3, v12, v3
	v_or_b32_e32 v1, 4, v21
	v_cmp_lt_i32_e64 s[0:1], v1, v20
	s_and_b64 s[0:1], vcc, s[0:1]
	s_and_saveexec_b64 s[4:5], s[0:1]
	s_cbranch_execz .LBB5_32
; %bb.31:
	s_waitcnt lgkmcnt(2)
	v_mad_u64_u32 v[8:9], s[0:1], v1, s2, v[0:1]
	v_ashrrev_i32_e32 v9, 31, v8
	v_lshlrev_b64 v[8:9], 3, v[8:9]
	v_add_co_u32_e64 v8, s[0:1], v10, v8
	v_addc_co_u32_e64 v9, s[0:1], v11, v9, s[0:1]
	global_load_dwordx2 v[14:15], v[8:9], off
	s_waitcnt vmcnt(0)
	v_mul_f64 v[14:15], v[14:15], s[16:17]
	s_waitcnt lgkmcnt(0)
	v_fmac_f64_e32 v[14:15], s[12:13], v[2:3]
	global_store_dwordx2 v[8:9], v[14:15], off
.LBB5_32:
	s_or_b64 exec, exec, s[4:5]
	s_waitcnt lgkmcnt(1)
	ds_bpermute_b32 v2, v12, v4
	s_waitcnt lgkmcnt(1)
	ds_bpermute_b32 v3, v12, v5
	v_or_b32_e32 v1, 8, v21
	v_cmp_lt_i32_e64 s[0:1], v1, v20
	s_and_b64 s[0:1], vcc, s[0:1]
	s_and_saveexec_b64 s[4:5], s[0:1]
	s_cbranch_execz .LBB5_34
; %bb.33:
	v_mad_u64_u32 v[4:5], s[0:1], v1, s2, v[0:1]
	v_ashrrev_i32_e32 v5, 31, v4
	v_lshlrev_b64 v[4:5], 3, v[4:5]
	v_add_co_u32_e64 v4, s[0:1], v10, v4
	v_addc_co_u32_e64 v5, s[0:1], v11, v5, s[0:1]
	global_load_dwordx2 v[8:9], v[4:5], off
	s_waitcnt vmcnt(0)
	v_mul_f64 v[8:9], v[8:9], s[16:17]
	s_waitcnt lgkmcnt(0)
	v_fmac_f64_e32 v[8:9], s[12:13], v[2:3]
	global_store_dwordx2 v[4:5], v[8:9], off
.LBB5_34:
	s_or_b64 exec, exec, s[4:5]
	s_waitcnt lgkmcnt(1)
	ds_bpermute_b32 v2, v12, v6
	s_waitcnt lgkmcnt(1)
	ds_bpermute_b32 v3, v12, v7
	v_or_b32_e32 v1, 12, v21
	v_cmp_lt_i32_e64 s[0:1], v1, v20
	s_and_b64 s[0:1], vcc, s[0:1]
	s_and_b64 exec, exec, s[0:1]
	s_cbranch_execz .LBB5_36
; %bb.35:
	v_mad_u64_u32 v[0:1], s[0:1], v1, s2, v[0:1]
	v_ashrrev_i32_e32 v1, 31, v0
	v_lshlrev_b64 v[0:1], 3, v[0:1]
	v_add_co_u32_e32 v0, vcc, v10, v0
	v_addc_co_u32_e32 v1, vcc, v11, v1, vcc
	global_load_dwordx2 v[4:5], v[0:1], off
	s_waitcnt vmcnt(0)
	v_mul_f64 v[4:5], v[4:5], s[16:17]
	s_waitcnt lgkmcnt(0)
	v_fmac_f64_e32 v[4:5], s[12:13], v[2:3]
	global_store_dwordx2 v[0:1], v[4:5], off
.LBB5_36:
	s_endpgm
	.section	.rodata,"a",@progbits
	.p2align	6, 0x0
	.amdhsa_kernel _ZN9rocsolver6v33100L16mfma_gemm_kernelIdidPKPdS4_S4_EEv18rocblas_operation_S5_T0_S6_S6_T1_T2_lS6_S6_lT3_lS6_S6_lS7_T4_lS6_S6_l
		.amdhsa_group_segment_fixed_size 0
		.amdhsa_private_segment_fixed_size 0
		.amdhsa_kernarg_size 392
		.amdhsa_user_sgpr_count 6
		.amdhsa_user_sgpr_private_segment_buffer 1
		.amdhsa_user_sgpr_dispatch_ptr 0
		.amdhsa_user_sgpr_queue_ptr 0
		.amdhsa_user_sgpr_kernarg_segment_ptr 1
		.amdhsa_user_sgpr_dispatch_id 0
		.amdhsa_user_sgpr_flat_scratch_init 0
		.amdhsa_user_sgpr_kernarg_preload_length 0
		.amdhsa_user_sgpr_kernarg_preload_offset 0
		.amdhsa_user_sgpr_private_segment_size 0
		.amdhsa_uses_dynamic_stack 0
		.amdhsa_system_sgpr_private_segment_wavefront_offset 0
		.amdhsa_system_sgpr_workgroup_id_x 1
		.amdhsa_system_sgpr_workgroup_id_y 1
		.amdhsa_system_sgpr_workgroup_id_z 1
		.amdhsa_system_sgpr_workgroup_info 0
		.amdhsa_system_vgpr_workitem_id 1
		.amdhsa_next_free_vgpr 34
		.amdhsa_next_free_sgpr 36
		.amdhsa_accum_offset 36
		.amdhsa_reserve_vcc 1
		.amdhsa_reserve_flat_scratch 0
		.amdhsa_float_round_mode_32 0
		.amdhsa_float_round_mode_16_64 0
		.amdhsa_float_denorm_mode_32 3
		.amdhsa_float_denorm_mode_16_64 3
		.amdhsa_dx10_clamp 1
		.amdhsa_ieee_mode 1
		.amdhsa_fp16_overflow 0
		.amdhsa_tg_split 0
		.amdhsa_exception_fp_ieee_invalid_op 0
		.amdhsa_exception_fp_denorm_src 0
		.amdhsa_exception_fp_ieee_div_zero 0
		.amdhsa_exception_fp_ieee_overflow 0
		.amdhsa_exception_fp_ieee_underflow 0
		.amdhsa_exception_fp_ieee_inexact 0
		.amdhsa_exception_int_div_zero 0
	.end_amdhsa_kernel
	.section	.text._ZN9rocsolver6v33100L16mfma_gemm_kernelIdidPKPdS4_S4_EEv18rocblas_operation_S5_T0_S6_S6_T1_T2_lS6_S6_lT3_lS6_S6_lS7_T4_lS6_S6_l,"axG",@progbits,_ZN9rocsolver6v33100L16mfma_gemm_kernelIdidPKPdS4_S4_EEv18rocblas_operation_S5_T0_S6_S6_T1_T2_lS6_S6_lT3_lS6_S6_lS7_T4_lS6_S6_l,comdat
.Lfunc_end5:
	.size	_ZN9rocsolver6v33100L16mfma_gemm_kernelIdidPKPdS4_S4_EEv18rocblas_operation_S5_T0_S6_S6_T1_T2_lS6_S6_lT3_lS6_S6_lS7_T4_lS6_S6_l, .Lfunc_end5-_ZN9rocsolver6v33100L16mfma_gemm_kernelIdidPKPdS4_S4_EEv18rocblas_operation_S5_T0_S6_S6_T1_T2_lS6_S6_lT3_lS6_S6_lS7_T4_lS6_S6_l
                                        ; -- End function
	.section	.AMDGPU.csdata,"",@progbits
; Kernel info:
; codeLenInByte = 1688
; NumSgprs: 40
; NumVgprs: 34
; NumAgprs: 0
; TotalNumVgprs: 34
; ScratchSize: 0
; MemoryBound: 0
; FloatMode: 240
; IeeeMode: 1
; LDSByteSize: 0 bytes/workgroup (compile time only)
; SGPRBlocks: 4
; VGPRBlocks: 4
; NumSGPRsForWavesPerEU: 40
; NumVGPRsForWavesPerEU: 34
; AccumOffset: 36
; Occupancy: 8
; WaveLimiterHint : 1
; COMPUTE_PGM_RSRC2:SCRATCH_EN: 0
; COMPUTE_PGM_RSRC2:USER_SGPR: 6
; COMPUTE_PGM_RSRC2:TRAP_HANDLER: 0
; COMPUTE_PGM_RSRC2:TGID_X_EN: 1
; COMPUTE_PGM_RSRC2:TGID_Y_EN: 1
; COMPUTE_PGM_RSRC2:TGID_Z_EN: 1
; COMPUTE_PGM_RSRC2:TIDIG_COMP_CNT: 1
; COMPUTE_PGM_RSRC3_GFX90A:ACCUM_OFFSET: 8
; COMPUTE_PGM_RSRC3_GFX90A:TG_SPLIT: 0
	.section	.text._ZN9rocsolver6v33100L11gemm_kernelIdiPKdPKPdS6_S6_EEvT0_S7_S7_T1_bT2_lS7_S7_lbT3_lS7_S7_lS8_T4_lS7_S7_l,"axG",@progbits,_ZN9rocsolver6v33100L11gemm_kernelIdiPKdPKPdS6_S6_EEvT0_S7_S7_T1_bT2_lS7_S7_lbT3_lS7_S7_lS8_T4_lS7_S7_l,comdat
	.globl	_ZN9rocsolver6v33100L11gemm_kernelIdiPKdPKPdS6_S6_EEvT0_S7_S7_T1_bT2_lS7_S7_lbT3_lS7_S7_lS8_T4_lS7_S7_l ; -- Begin function _ZN9rocsolver6v33100L11gemm_kernelIdiPKdPKPdS6_S6_EEvT0_S7_S7_T1_bT2_lS7_S7_lbT3_lS7_S7_lS8_T4_lS7_S7_l
	.p2align	8
	.type	_ZN9rocsolver6v33100L11gemm_kernelIdiPKdPKPdS6_S6_EEvT0_S7_S7_T1_bT2_lS7_S7_lbT3_lS7_S7_lS8_T4_lS7_S7_l,@function
_ZN9rocsolver6v33100L11gemm_kernelIdiPKdPKPdS6_S6_EEvT0_S7_S7_T1_bT2_lS7_S7_lbT3_lS7_S7_lS8_T4_lS7_S7_l: ; @_ZN9rocsolver6v33100L11gemm_kernelIdiPKdPKPdS6_S6_EEvT0_S7_S7_T1_bT2_lS7_S7_lbT3_lS7_S7_lS8_T4_lS7_S7_l
; %bb.0:
	s_load_dword s9, s[4:5], 0x9c
	s_load_dwordx4 s[0:3], s[4:5], 0x0
	v_and_b32_e32 v1, 0x3ff, v0
	v_bfe_u32 v0, v0, 10, 10
	s_waitcnt lgkmcnt(0)
	s_and_b32 s3, s9, 0xffff
	s_lshr_b32 s9, s9, 16
	s_mul_i32 s7, s7, s9
	s_mul_i32 s6, s6, s3
	v_add_u32_e32 v6, s6, v1
	v_add_u32_e32 v7, s7, v0
	v_cmp_gt_i32_e32 vcc, s0, v6
	v_cmp_gt_i32_e64 s[0:1], s1, v7
	s_and_b64 s[0:1], vcc, s[0:1]
	s_and_saveexec_b64 s[6:7], s[0:1]
	s_cbranch_execz .LBB6_6
; %bb.1:
	s_load_dwordx4 s[12:15], s[4:5], 0x68
	s_load_dwordx2 s[6:7], s[4:5], 0x10
	s_load_dwordx2 s[0:1], s[4:5], 0x78
	s_ashr_i32 s9, s8, 31
	s_lshl_b64 s[10:11], s[8:9], 3
	s_waitcnt lgkmcnt(0)
	s_add_u32 s8, s14, s10
	s_addc_u32 s9, s15, s11
	s_load_dwordx2 s[8:9], s[8:9], 0x0
	s_cmp_lt_i32 s2, 1
	s_cbranch_scc1 .LBB6_4
; %bb.2:
	s_load_dwordx4 s[16:19], s[4:5], 0x20
	s_load_dwordx2 s[14:15], s[4:5], 0x30
	s_load_dwordx4 s[20:23], s[4:5], 0x48
	s_load_dwordx2 s[24:25], s[4:5], 0x58
	s_waitcnt lgkmcnt(0)
	s_add_u32 s16, s16, s10
	s_addc_u32 s17, s17, s11
	s_add_u32 s10, s20, s10
	s_addc_u32 s11, s21, s11
	s_load_dwordx2 s[10:11], s[10:11], 0x0
	v_mul_lo_u32 v2, v7, s25
	s_load_dwordx2 s[16:17], s[16:17], 0x0
	s_lshl_b64 s[20:21], s[22:23], 3
	v_ashrrev_i32_e32 v3, 31, v2
	s_waitcnt lgkmcnt(0)
	s_add_u32 s3, s10, s20
	v_lshlrev_b64 v[2:3], 3, v[2:3]
	s_addc_u32 s10, s11, s21
	s_ashr_i32 s25, s24, 31
	v_mul_lo_u32 v0, v6, s14
	v_mov_b32_e32 v1, s10
	v_add_co_u32_e32 v2, vcc, s3, v2
	s_lshl_b64 s[10:11], s[24:25], 3
	s_lshl_b64 s[18:19], s[18:19], 3
	v_addc_co_u32_e32 v3, vcc, v1, v3, vcc
	v_ashrrev_i32_e32 v1, 31, v0
	s_add_u32 s3, s16, s18
	v_lshlrev_b64 v[0:1], 3, v[0:1]
	s_addc_u32 s14, s17, s19
	s_ashr_i32 s17, s15, 31
	s_mov_b32 s16, s15
	v_mov_b32_e32 v5, s14
	v_add_co_u32_e32 v4, vcc, s3, v0
	s_lshl_b64 s[14:15], s[16:17], 3
	v_addc_co_u32_e32 v5, vcc, v5, v1, vcc
	v_pk_mov_b32 v[0:1], 0, 0
	v_mov_b32_e32 v8, s11
	v_mov_b32_e32 v9, s15
.LBB6_3:                                ; =>This Inner Loop Header: Depth=1
	global_load_dwordx2 v[10:11], v[4:5], off
	global_load_dwordx2 v[12:13], v[2:3], off
	v_add_co_u32_e32 v2, vcc, s10, v2
	v_addc_co_u32_e32 v3, vcc, v3, v8, vcc
	v_add_co_u32_e32 v4, vcc, s14, v4
	s_add_i32 s2, s2, -1
	v_addc_co_u32_e32 v5, vcc, v5, v9, vcc
	s_cmp_eq_u32 s2, 0
	s_waitcnt vmcnt(0)
	v_fmac_f64_e32 v[0:1], v[10:11], v[12:13]
	s_cbranch_scc0 .LBB6_3
	s_branch .LBB6_5
.LBB6_4:
	v_pk_mov_b32 v[0:1], 0, 0
.LBB6_5:
	s_load_dwordx2 s[2:3], s[6:7], 0x0
	s_load_dwordx2 s[10:11], s[12:13], 0x0
                                        ; kill: killed $sgpr12_sgpr13
                                        ; kill: killed $sgpr6_sgpr7
	s_nop 0
	s_load_dwordx2 s[4:5], s[4:5], 0x80
	s_lshl_b64 s[0:1], s[0:1], 3
	s_waitcnt lgkmcnt(0)
	s_add_u32 s6, s8, s0
	s_addc_u32 s7, s9, s1
	v_mov_b32_e32 v4, s7
	v_mul_lo_u32 v2, v6, s4
	v_mad_u64_u32 v[2:3], s[0:1], v7, s5, v[2:3]
	v_ashrrev_i32_e32 v3, 31, v2
	v_lshlrev_b64 v[2:3], 3, v[2:3]
	v_add_co_u32_e32 v2, vcc, s6, v2
	v_addc_co_u32_e32 v3, vcc, v4, v3, vcc
	global_load_dwordx2 v[4:5], v[2:3], off
	s_waitcnt vmcnt(0)
	v_mul_f64 v[4:5], s[10:11], v[4:5]
	v_fmac_f64_e32 v[4:5], s[2:3], v[0:1]
	global_store_dwordx2 v[2:3], v[4:5], off
.LBB6_6:
	s_endpgm
	.section	.rodata,"a",@progbits
	.p2align	6, 0x0
	.amdhsa_kernel _ZN9rocsolver6v33100L11gemm_kernelIdiPKdPKPdS6_S6_EEvT0_S7_S7_T1_bT2_lS7_S7_lbT3_lS7_S7_lS8_T4_lS7_S7_l
		.amdhsa_group_segment_fixed_size 0
		.amdhsa_private_segment_fixed_size 0
		.amdhsa_kernarg_size 400
		.amdhsa_user_sgpr_count 6
		.amdhsa_user_sgpr_private_segment_buffer 1
		.amdhsa_user_sgpr_dispatch_ptr 0
		.amdhsa_user_sgpr_queue_ptr 0
		.amdhsa_user_sgpr_kernarg_segment_ptr 1
		.amdhsa_user_sgpr_dispatch_id 0
		.amdhsa_user_sgpr_flat_scratch_init 0
		.amdhsa_user_sgpr_kernarg_preload_length 0
		.amdhsa_user_sgpr_kernarg_preload_offset 0
		.amdhsa_user_sgpr_private_segment_size 0
		.amdhsa_uses_dynamic_stack 0
		.amdhsa_system_sgpr_private_segment_wavefront_offset 0
		.amdhsa_system_sgpr_workgroup_id_x 1
		.amdhsa_system_sgpr_workgroup_id_y 1
		.amdhsa_system_sgpr_workgroup_id_z 1
		.amdhsa_system_sgpr_workgroup_info 0
		.amdhsa_system_vgpr_workitem_id 1
		.amdhsa_next_free_vgpr 14
		.amdhsa_next_free_sgpr 26
		.amdhsa_accum_offset 16
		.amdhsa_reserve_vcc 1
		.amdhsa_reserve_flat_scratch 0
		.amdhsa_float_round_mode_32 0
		.amdhsa_float_round_mode_16_64 0
		.amdhsa_float_denorm_mode_32 3
		.amdhsa_float_denorm_mode_16_64 3
		.amdhsa_dx10_clamp 1
		.amdhsa_ieee_mode 1
		.amdhsa_fp16_overflow 0
		.amdhsa_tg_split 0
		.amdhsa_exception_fp_ieee_invalid_op 0
		.amdhsa_exception_fp_denorm_src 0
		.amdhsa_exception_fp_ieee_div_zero 0
		.amdhsa_exception_fp_ieee_overflow 0
		.amdhsa_exception_fp_ieee_underflow 0
		.amdhsa_exception_fp_ieee_inexact 0
		.amdhsa_exception_int_div_zero 0
	.end_amdhsa_kernel
	.section	.text._ZN9rocsolver6v33100L11gemm_kernelIdiPKdPKPdS6_S6_EEvT0_S7_S7_T1_bT2_lS7_S7_lbT3_lS7_S7_lS8_T4_lS7_S7_l,"axG",@progbits,_ZN9rocsolver6v33100L11gemm_kernelIdiPKdPKPdS6_S6_EEvT0_S7_S7_T1_bT2_lS7_S7_lbT3_lS7_S7_lS8_T4_lS7_S7_l,comdat
.Lfunc_end6:
	.size	_ZN9rocsolver6v33100L11gemm_kernelIdiPKdPKPdS6_S6_EEvT0_S7_S7_T1_bT2_lS7_S7_lbT3_lS7_S7_lS8_T4_lS7_S7_l, .Lfunc_end6-_ZN9rocsolver6v33100L11gemm_kernelIdiPKdPKPdS6_S6_EEvT0_S7_S7_T1_bT2_lS7_S7_lbT3_lS7_S7_lS8_T4_lS7_S7_l
                                        ; -- End function
	.section	.AMDGPU.csdata,"",@progbits
; Kernel info:
; codeLenInByte = 528
; NumSgprs: 30
; NumVgprs: 14
; NumAgprs: 0
; TotalNumVgprs: 14
; ScratchSize: 0
; MemoryBound: 0
; FloatMode: 240
; IeeeMode: 1
; LDSByteSize: 0 bytes/workgroup (compile time only)
; SGPRBlocks: 3
; VGPRBlocks: 1
; NumSGPRsForWavesPerEU: 30
; NumVGPRsForWavesPerEU: 14
; AccumOffset: 16
; Occupancy: 8
; WaveLimiterHint : 1
; COMPUTE_PGM_RSRC2:SCRATCH_EN: 0
; COMPUTE_PGM_RSRC2:USER_SGPR: 6
; COMPUTE_PGM_RSRC2:TRAP_HANDLER: 0
; COMPUTE_PGM_RSRC2:TGID_X_EN: 1
; COMPUTE_PGM_RSRC2:TGID_Y_EN: 1
; COMPUTE_PGM_RSRC2:TGID_Z_EN: 1
; COMPUTE_PGM_RSRC2:TIDIG_COMP_CNT: 1
; COMPUTE_PGM_RSRC3_GFX90A:ACCUM_OFFSET: 3
; COMPUTE_PGM_RSRC3_GFX90A:TG_SPLIT: 0
	.section	.text._ZN9rocsolver6v33100L11gemm_kernelIdidPKPdS4_S4_EEvT0_S5_S5_T1_bT2_lS5_S5_lbT3_lS5_S5_lS6_T4_lS5_S5_l,"axG",@progbits,_ZN9rocsolver6v33100L11gemm_kernelIdidPKPdS4_S4_EEvT0_S5_S5_T1_bT2_lS5_S5_lbT3_lS5_S5_lS6_T4_lS5_S5_l,comdat
	.globl	_ZN9rocsolver6v33100L11gemm_kernelIdidPKPdS4_S4_EEvT0_S5_S5_T1_bT2_lS5_S5_lbT3_lS5_S5_lS6_T4_lS5_S5_l ; -- Begin function _ZN9rocsolver6v33100L11gemm_kernelIdidPKPdS4_S4_EEvT0_S5_S5_T1_bT2_lS5_S5_lbT3_lS5_S5_lS6_T4_lS5_S5_l
	.p2align	8
	.type	_ZN9rocsolver6v33100L11gemm_kernelIdidPKPdS4_S4_EEvT0_S5_S5_T1_bT2_lS5_S5_lbT3_lS5_S5_lS6_T4_lS5_S5_l,@function
_ZN9rocsolver6v33100L11gemm_kernelIdidPKPdS4_S4_EEvT0_S5_S5_T1_bT2_lS5_S5_lbT3_lS5_S5_lS6_T4_lS5_S5_l: ; @_ZN9rocsolver6v33100L11gemm_kernelIdidPKPdS4_S4_EEvT0_S5_S5_T1_bT2_lS5_S5_lbT3_lS5_S5_lS6_T4_lS5_S5_l
; %bb.0:
	s_load_dword s0, s[4:5], 0x9c
	s_load_dwordx4 s[12:15], s[4:5], 0x0
	v_and_b32_e32 v1, 0x3ff, v0
	v_bfe_u32 v0, v0, 10, 10
	s_waitcnt lgkmcnt(0)
	s_and_b32 s1, s0, 0xffff
	s_lshr_b32 s0, s0, 16
	s_mul_i32 s7, s7, s0
	s_mul_i32 s6, s6, s1
	v_add_u32_e32 v6, s6, v1
	v_add_u32_e32 v7, s7, v0
	v_cmp_gt_i32_e32 vcc, s12, v6
	v_cmp_gt_i32_e64 s[0:1], s13, v7
	s_and_b64 s[0:1], vcc, s[0:1]
	s_and_saveexec_b64 s[2:3], s[0:1]
	s_cbranch_execz .LBB7_6
; %bb.1:
	s_load_dwordx4 s[0:3], s[4:5], 0x68
	s_load_dwordx2 s[6:7], s[4:5], 0x78
	s_ashr_i32 s9, s8, 31
	s_lshl_b64 s[8:9], s[8:9], 3
	s_waitcnt lgkmcnt(0)
	s_add_u32 s2, s2, s8
	s_addc_u32 s3, s3, s9
	s_load_dwordx2 s[2:3], s[2:3], 0x0
	s_cmp_lt_i32 s14, 1
	s_cbranch_scc1 .LBB7_4
; %bb.2:
	s_load_dwordx4 s[16:19], s[4:5], 0x20
	s_load_dwordx2 s[10:11], s[4:5], 0x30
	s_load_dwordx4 s[20:23], s[4:5], 0x48
	s_load_dwordx2 s[12:13], s[4:5], 0x58
	s_waitcnt lgkmcnt(0)
	s_add_u32 s16, s16, s8
	s_addc_u32 s17, s17, s9
	s_add_u32 s8, s20, s8
	s_addc_u32 s9, s21, s9
	s_load_dwordx2 s[8:9], s[8:9], 0x0
	v_mul_lo_u32 v2, v7, s13
	s_load_dwordx2 s[16:17], s[16:17], 0x0
	s_lshl_b64 s[20:21], s[22:23], 3
	v_ashrrev_i32_e32 v3, 31, v2
	s_waitcnt lgkmcnt(0)
	s_add_u32 s8, s8, s20
	v_lshlrev_b64 v[2:3], 3, v[2:3]
	s_addc_u32 s9, s9, s21
	s_ashr_i32 s13, s12, 31
	v_mov_b32_e32 v1, s9
	v_add_co_u32_e32 v2, vcc, s8, v2
	s_lshl_b64 s[8:9], s[12:13], 3
	s_lshl_b64 s[12:13], s[18:19], 3
	v_mul_lo_u32 v0, v6, s10
	s_add_u32 s10, s16, s12
	v_addc_co_u32_e32 v3, vcc, v1, v3, vcc
	v_ashrrev_i32_e32 v1, 31, v0
	s_addc_u32 s12, s17, s13
	v_lshlrev_b64 v[0:1], 3, v[0:1]
	v_mov_b32_e32 v5, s12
	s_ashr_i32 s13, s11, 31
	s_mov_b32 s12, s11
	v_add_co_u32_e32 v4, vcc, s10, v0
	s_lshl_b64 s[10:11], s[12:13], 3
	v_addc_co_u32_e32 v5, vcc, v5, v1, vcc
	v_pk_mov_b32 v[0:1], 0, 0
	v_mov_b32_e32 v8, s9
	v_mov_b32_e32 v9, s11
.LBB7_3:                                ; =>This Inner Loop Header: Depth=1
	global_load_dwordx2 v[10:11], v[4:5], off
	global_load_dwordx2 v[12:13], v[2:3], off
	v_add_co_u32_e32 v2, vcc, s8, v2
	v_addc_co_u32_e32 v3, vcc, v3, v8, vcc
	v_add_co_u32_e32 v4, vcc, s10, v4
	s_add_i32 s14, s14, -1
	v_addc_co_u32_e32 v5, vcc, v5, v9, vcc
	s_cmp_eq_u32 s14, 0
	s_waitcnt vmcnt(0)
	v_fmac_f64_e32 v[0:1], v[10:11], v[12:13]
	s_cbranch_scc0 .LBB7_3
	s_branch .LBB7_5
.LBB7_4:
	v_pk_mov_b32 v[0:1], 0, 0
.LBB7_5:
	s_load_dwordx2 s[8:9], s[4:5], 0x80
	s_lshl_b64 s[6:7], s[6:7], 3
	s_waitcnt lgkmcnt(0)
	s_add_u32 s6, s2, s6
	s_addc_u32 s7, s3, s7
	v_mov_b32_e32 v4, s7
	v_mul_lo_u32 v2, v6, s8
	v_mad_u64_u32 v[2:3], s[2:3], v7, s9, v[2:3]
	v_ashrrev_i32_e32 v3, 31, v2
	v_lshlrev_b64 v[2:3], 3, v[2:3]
	v_add_co_u32_e32 v2, vcc, s6, v2
	v_addc_co_u32_e32 v3, vcc, v4, v3, vcc
	global_load_dwordx2 v[4:5], v[2:3], off
	s_load_dwordx2 s[2:3], s[4:5], 0x10
	s_waitcnt vmcnt(0)
	v_mul_f64 v[4:5], v[4:5], s[0:1]
	s_waitcnt lgkmcnt(0)
	v_fmac_f64_e32 v[4:5], s[2:3], v[0:1]
	global_store_dwordx2 v[2:3], v[4:5], off
.LBB7_6:
	s_endpgm
	.section	.rodata,"a",@progbits
	.p2align	6, 0x0
	.amdhsa_kernel _ZN9rocsolver6v33100L11gemm_kernelIdidPKPdS4_S4_EEvT0_S5_S5_T1_bT2_lS5_S5_lbT3_lS5_S5_lS6_T4_lS5_S5_l
		.amdhsa_group_segment_fixed_size 0
		.amdhsa_private_segment_fixed_size 0
		.amdhsa_kernarg_size 400
		.amdhsa_user_sgpr_count 6
		.amdhsa_user_sgpr_private_segment_buffer 1
		.amdhsa_user_sgpr_dispatch_ptr 0
		.amdhsa_user_sgpr_queue_ptr 0
		.amdhsa_user_sgpr_kernarg_segment_ptr 1
		.amdhsa_user_sgpr_dispatch_id 0
		.amdhsa_user_sgpr_flat_scratch_init 0
		.amdhsa_user_sgpr_kernarg_preload_length 0
		.amdhsa_user_sgpr_kernarg_preload_offset 0
		.amdhsa_user_sgpr_private_segment_size 0
		.amdhsa_uses_dynamic_stack 0
		.amdhsa_system_sgpr_private_segment_wavefront_offset 0
		.amdhsa_system_sgpr_workgroup_id_x 1
		.amdhsa_system_sgpr_workgroup_id_y 1
		.amdhsa_system_sgpr_workgroup_id_z 1
		.amdhsa_system_sgpr_workgroup_info 0
		.amdhsa_system_vgpr_workitem_id 1
		.amdhsa_next_free_vgpr 14
		.amdhsa_next_free_sgpr 24
		.amdhsa_accum_offset 16
		.amdhsa_reserve_vcc 1
		.amdhsa_reserve_flat_scratch 0
		.amdhsa_float_round_mode_32 0
		.amdhsa_float_round_mode_16_64 0
		.amdhsa_float_denorm_mode_32 3
		.amdhsa_float_denorm_mode_16_64 3
		.amdhsa_dx10_clamp 1
		.amdhsa_ieee_mode 1
		.amdhsa_fp16_overflow 0
		.amdhsa_tg_split 0
		.amdhsa_exception_fp_ieee_invalid_op 0
		.amdhsa_exception_fp_denorm_src 0
		.amdhsa_exception_fp_ieee_div_zero 0
		.amdhsa_exception_fp_ieee_overflow 0
		.amdhsa_exception_fp_ieee_underflow 0
		.amdhsa_exception_fp_ieee_inexact 0
		.amdhsa_exception_int_div_zero 0
	.end_amdhsa_kernel
	.section	.text._ZN9rocsolver6v33100L11gemm_kernelIdidPKPdS4_S4_EEvT0_S5_S5_T1_bT2_lS5_S5_lbT3_lS5_S5_lS6_T4_lS5_S5_l,"axG",@progbits,_ZN9rocsolver6v33100L11gemm_kernelIdidPKPdS4_S4_EEvT0_S5_S5_T1_bT2_lS5_S5_lbT3_lS5_S5_lS6_T4_lS5_S5_l,comdat
.Lfunc_end7:
	.size	_ZN9rocsolver6v33100L11gemm_kernelIdidPKPdS4_S4_EEvT0_S5_S5_T1_bT2_lS5_S5_lbT3_lS5_S5_lS6_T4_lS5_S5_l, .Lfunc_end7-_ZN9rocsolver6v33100L11gemm_kernelIdidPKPdS4_S4_EEvT0_S5_S5_T1_bT2_lS5_S5_lbT3_lS5_S5_lS6_T4_lS5_S5_l
                                        ; -- End function
	.section	.AMDGPU.csdata,"",@progbits
; Kernel info:
; codeLenInByte = 512
; NumSgprs: 28
; NumVgprs: 14
; NumAgprs: 0
; TotalNumVgprs: 14
; ScratchSize: 0
; MemoryBound: 0
; FloatMode: 240
; IeeeMode: 1
; LDSByteSize: 0 bytes/workgroup (compile time only)
; SGPRBlocks: 3
; VGPRBlocks: 1
; NumSGPRsForWavesPerEU: 28
; NumVGPRsForWavesPerEU: 14
; AccumOffset: 16
; Occupancy: 8
; WaveLimiterHint : 1
; COMPUTE_PGM_RSRC2:SCRATCH_EN: 0
; COMPUTE_PGM_RSRC2:USER_SGPR: 6
; COMPUTE_PGM_RSRC2:TRAP_HANDLER: 0
; COMPUTE_PGM_RSRC2:TGID_X_EN: 1
; COMPUTE_PGM_RSRC2:TGID_Y_EN: 1
; COMPUTE_PGM_RSRC2:TGID_Z_EN: 1
; COMPUTE_PGM_RSRC2:TIDIG_COMP_CNT: 1
; COMPUTE_PGM_RSRC3_GFX90A:ACCUM_OFFSET: 3
; COMPUTE_PGM_RSRC3_GFX90A:TG_SPLIT: 0
	.section	.text._ZN9rocsolver6v33100L9get_arrayIdiEEvPPT_S3_lT0_,"axG",@progbits,_ZN9rocsolver6v33100L9get_arrayIdiEEvPPT_S3_lT0_,comdat
	.globl	_ZN9rocsolver6v33100L9get_arrayIdiEEvPPT_S3_lT0_ ; -- Begin function _ZN9rocsolver6v33100L9get_arrayIdiEEvPPT_S3_lT0_
	.p2align	8
	.type	_ZN9rocsolver6v33100L9get_arrayIdiEEvPPT_S3_lT0_,@function
_ZN9rocsolver6v33100L9get_arrayIdiEEvPPT_S3_lT0_: ; @_ZN9rocsolver6v33100L9get_arrayIdiEEvPPT_S3_lT0_
; %bb.0:
	s_load_dword s0, s[4:5], 0x2c
	s_load_dword s1, s[4:5], 0x18
	s_waitcnt lgkmcnt(0)
	s_and_b32 s0, s0, 0xffff
	s_mul_i32 s6, s6, s0
	v_add_u32_e32 v0, s6, v0
	v_cmp_gt_i32_e32 vcc, s1, v0
	s_and_saveexec_b64 s[0:1], vcc
	s_cbranch_execz .LBB8_2
; %bb.1:
	s_load_dwordx2 s[6:7], s[4:5], 0x10
	s_load_dwordx4 s[0:3], s[4:5], 0x0
	v_ashrrev_i32_e32 v1, 31, v0
	s_waitcnt lgkmcnt(0)
	v_mul_lo_u32 v4, v0, s7
	v_mul_lo_u32 v5, v1, s6
	v_mad_u64_u32 v[2:3], s[4:5], v0, s6, 0
	v_add3_u32 v3, v3, v4, v5
	v_lshlrev_b64 v[2:3], 3, v[2:3]
	v_mov_b32_e32 v4, s3
	v_add_co_u32_e32 v2, vcc, s2, v2
	v_addc_co_u32_e32 v3, vcc, v4, v3, vcc
	v_lshlrev_b64 v[0:1], 3, v[0:1]
	v_mov_b32_e32 v4, s1
	v_add_co_u32_e32 v0, vcc, s0, v0
	v_addc_co_u32_e32 v1, vcc, v4, v1, vcc
	global_store_dwordx2 v[0:1], v[2:3], off
.LBB8_2:
	s_endpgm
	.section	.rodata,"a",@progbits
	.p2align	6, 0x0
	.amdhsa_kernel _ZN9rocsolver6v33100L9get_arrayIdiEEvPPT_S3_lT0_
		.amdhsa_group_segment_fixed_size 0
		.amdhsa_private_segment_fixed_size 0
		.amdhsa_kernarg_size 288
		.amdhsa_user_sgpr_count 6
		.amdhsa_user_sgpr_private_segment_buffer 1
		.amdhsa_user_sgpr_dispatch_ptr 0
		.amdhsa_user_sgpr_queue_ptr 0
		.amdhsa_user_sgpr_kernarg_segment_ptr 1
		.amdhsa_user_sgpr_dispatch_id 0
		.amdhsa_user_sgpr_flat_scratch_init 0
		.amdhsa_user_sgpr_kernarg_preload_length 0
		.amdhsa_user_sgpr_kernarg_preload_offset 0
		.amdhsa_user_sgpr_private_segment_size 0
		.amdhsa_uses_dynamic_stack 0
		.amdhsa_system_sgpr_private_segment_wavefront_offset 0
		.amdhsa_system_sgpr_workgroup_id_x 1
		.amdhsa_system_sgpr_workgroup_id_y 0
		.amdhsa_system_sgpr_workgroup_id_z 0
		.amdhsa_system_sgpr_workgroup_info 0
		.amdhsa_system_vgpr_workitem_id 0
		.amdhsa_next_free_vgpr 6
		.amdhsa_next_free_sgpr 8
		.amdhsa_accum_offset 8
		.amdhsa_reserve_vcc 1
		.amdhsa_reserve_flat_scratch 0
		.amdhsa_float_round_mode_32 0
		.amdhsa_float_round_mode_16_64 0
		.amdhsa_float_denorm_mode_32 3
		.amdhsa_float_denorm_mode_16_64 3
		.amdhsa_dx10_clamp 1
		.amdhsa_ieee_mode 1
		.amdhsa_fp16_overflow 0
		.amdhsa_tg_split 0
		.amdhsa_exception_fp_ieee_invalid_op 0
		.amdhsa_exception_fp_denorm_src 0
		.amdhsa_exception_fp_ieee_div_zero 0
		.amdhsa_exception_fp_ieee_overflow 0
		.amdhsa_exception_fp_ieee_underflow 0
		.amdhsa_exception_fp_ieee_inexact 0
		.amdhsa_exception_int_div_zero 0
	.end_amdhsa_kernel
	.section	.text._ZN9rocsolver6v33100L9get_arrayIdiEEvPPT_S3_lT0_,"axG",@progbits,_ZN9rocsolver6v33100L9get_arrayIdiEEvPPT_S3_lT0_,comdat
.Lfunc_end8:
	.size	_ZN9rocsolver6v33100L9get_arrayIdiEEvPPT_S3_lT0_, .Lfunc_end8-_ZN9rocsolver6v33100L9get_arrayIdiEEvPPT_S3_lT0_
                                        ; -- End function
	.section	.AMDGPU.csdata,"",@progbits
; Kernel info:
; codeLenInByte = 156
; NumSgprs: 12
; NumVgprs: 6
; NumAgprs: 0
; TotalNumVgprs: 6
; ScratchSize: 0
; MemoryBound: 0
; FloatMode: 240
; IeeeMode: 1
; LDSByteSize: 0 bytes/workgroup (compile time only)
; SGPRBlocks: 1
; VGPRBlocks: 0
; NumSGPRsForWavesPerEU: 12
; NumVGPRsForWavesPerEU: 6
; AccumOffset: 8
; Occupancy: 8
; WaveLimiterHint : 0
; COMPUTE_PGM_RSRC2:SCRATCH_EN: 0
; COMPUTE_PGM_RSRC2:USER_SGPR: 6
; COMPUTE_PGM_RSRC2:TRAP_HANDLER: 0
; COMPUTE_PGM_RSRC2:TGID_X_EN: 1
; COMPUTE_PGM_RSRC2:TGID_Y_EN: 0
; COMPUTE_PGM_RSRC2:TGID_Z_EN: 0
; COMPUTE_PGM_RSRC2:TIDIG_COMP_CNT: 0
; COMPUTE_PGM_RSRC3_GFX90A:ACCUM_OFFSET: 1
; COMPUTE_PGM_RSRC3_GFX90A:TG_SPLIT: 0
	.section	.text._ZN9rocsolver6v33100L16mfma_gemm_kernelIdiPKdPdPKS4_S6_EEv18rocblas_operation_S7_T0_S8_S8_T1_T2_lS8_S8_lT3_lS8_S8_lS9_T4_lS8_S8_l,"axG",@progbits,_ZN9rocsolver6v33100L16mfma_gemm_kernelIdiPKdPdPKS4_S6_EEv18rocblas_operation_S7_T0_S8_S8_T1_T2_lS8_S8_lT3_lS8_S8_lS9_T4_lS8_S8_l,comdat
	.globl	_ZN9rocsolver6v33100L16mfma_gemm_kernelIdiPKdPdPKS4_S6_EEv18rocblas_operation_S7_T0_S8_S8_T1_T2_lS8_S8_lT3_lS8_S8_lS9_T4_lS8_S8_l ; -- Begin function _ZN9rocsolver6v33100L16mfma_gemm_kernelIdiPKdPdPKS4_S6_EEv18rocblas_operation_S7_T0_S8_S8_T1_T2_lS8_S8_lT3_lS8_S8_lS9_T4_lS8_S8_l
	.p2align	8
	.type	_ZN9rocsolver6v33100L16mfma_gemm_kernelIdiPKdPdPKS4_S6_EEv18rocblas_operation_S7_T0_S8_S8_T1_T2_lS8_S8_lT3_lS8_S8_lS9_T4_lS8_S8_l,@function
_ZN9rocsolver6v33100L16mfma_gemm_kernelIdiPKdPdPKS4_S6_EEv18rocblas_operation_S7_T0_S8_S8_T1_T2_lS8_S8_lT3_lS8_S8_lS9_T4_lS8_S8_l: ; @_ZN9rocsolver6v33100L16mfma_gemm_kernelIdiPKdPdPKS4_S6_EEv18rocblas_operation_S7_T0_S8_S8_T1_T2_lS8_S8_lT3_lS8_S8_lS9_T4_lS8_S8_l
; %bb.0:
	s_load_dword s0, s[4:5], 0x94
	s_load_dwordx4 s[20:23], s[4:5], 0x0
	v_and_b32_e32 v22, 0x3ff, v0
	v_bfe_u32 v0, v0, 10, 10
	v_lshrrev_b32_e32 v1, 6, v22
	s_waitcnt lgkmcnt(0)
	s_lshr_b32 s1, s0, 16
	s_bfe_u32 s0, s0, 0xa0006
	s_mul_i32 s7, s7, s1
	s_mul_i32 s6, s6, s0
	v_add_u32_e32 v0, s7, v0
	v_add_lshl_u32 v23, s6, v1, 4
	v_lshlrev_b32_e32 v24, 4, v0
	v_cmp_gt_i32_e32 vcc, s22, v23
	v_cmp_gt_i32_e64 s[0:1], s23, v24
	s_and_b64 s[0:1], vcc, s[0:1]
	s_and_saveexec_b64 s[2:3], s[0:1]
	s_cbranch_execz .LBB9_36
; %bb.1:
	s_ashr_i32 s6, s22, 31
	s_lshr_b32 s6, s6, 28
	s_add_i32 s6, s22, s6
	s_and_b32 s6, s6, -16
	s_sub_i32 s6, s22, s6
	v_mov_b32_e32 v1, s6
	s_ashr_i32 s6, s23, 31
	s_load_dword s33, s[4:5], 0x10
	s_load_dwordx4 s[0:3], s[4:5], 0x18
	s_load_dwordx2 s[28:29], s[4:5], 0x70
	s_load_dwordx4 s[12:15], s[4:5], 0x60
	s_lshr_b32 s6, s6, 28
	s_add_i32 s6, s23, s6
	v_add_u32_e32 v0, 16, v23
	s_and_b32 s6, s6, -16
	v_cmp_lt_i32_e32 vcc, s22, v0
	s_sub_i32 s6, s23, s6
	s_ashr_i32 s9, s8, 31
	v_cndmask_b32_e32 v20, 16, v1, vcc
	v_add_u32_e32 v0, 16, v24
	v_mov_b32_e32 v1, s6
	s_lshl_b64 s[6:7], s[8:9], 3
	v_cmp_lt_i32_e32 vcc, s23, v0
	s_waitcnt lgkmcnt(0)
	s_load_dwordx2 s[10:11], s[0:1], 0x0
	s_load_dwordx2 s[22:23], s[12:13], 0x0
	s_add_u32 s0, s14, s6
	s_addc_u32 s1, s15, s7
	s_load_dwordx2 s[30:31], s[0:1], 0x0
	v_cndmask_b32_e32 v25, 16, v1, vcc
	v_bfe_u32 v26, v22, 2, 4
	v_pk_mov_b32 v[6:7], 0, 0
	v_and_b32_e32 v21, 3, v22
	s_cmp_lt_i32 s33, 1
	v_cmp_lt_i32_e64 s[0:1], v26, v25
	v_mbcnt_lo_u32_b32 v27, -1, 0
	v_pk_mov_b32 v[4:5], v[6:7], v[6:7] op_sel:[0,1]
	v_pk_mov_b32 v[2:3], v[6:7], v[6:7] op_sel:[0,1]
	;; [unrolled: 1-line block ×3, first 2 shown]
	s_cbranch_scc1 .LBB9_28
; %bb.2:
	s_load_dwordx8 s[12:19], s[4:5], 0x28
	s_load_dwordx4 s[24:27], s[4:5], 0x48
	v_and_b32_e32 v2, 63, v22
	v_lshrrev_b32_e32 v32, 4, v2
	s_waitcnt lgkmcnt(0)
	s_mul_i32 s17, s8, s17
	s_mul_hi_u32 s34, s8, s16
	s_mul_i32 s9, s9, s16
	s_mul_i32 s8, s8, s16
	s_add_i32 s16, s34, s17
	s_add_i32 s9, s16, s9
	s_lshl_b64 s[8:9], s[8:9], 3
	s_add_u32 s8, s2, s8
	s_addc_u32 s9, s3, s9
	s_lshl_b64 s[2:3], s[12:13], 3
	s_add_u32 s8, s8, s2
	s_addc_u32 s9, s9, s3
	s_add_u32 s2, s18, s6
	s_addc_u32 s3, s19, s7
	s_load_dwordx2 s[2:3], s[2:3], 0x0
	s_lshl_b64 s[6:7], s[24:25], 3
	v_mov_b32_e32 v3, s9
	s_waitcnt lgkmcnt(0)
	s_add_u32 s2, s2, s6
	s_addc_u32 s3, s3, s7
	s_cmpk_lg_i32 s20, 0x6f
	s_cselect_b64 s[12:13], -1, 0
	s_cmpk_eq_i32 s20, 0x6f
	s_cselect_b32 s6, s14, s15
	v_mul_lo_u32 v0, v23, s6
	s_cmpk_lg_i32 s21, 0x6f
	v_ashrrev_i32_e32 v1, 31, v0
	s_cselect_b64 s[16:17], -1, 0
	s_cmpk_eq_i32 s21, 0x6f
	v_lshlrev_b64 v[0:1], 3, v[0:1]
	s_cselect_b32 s6, s27, s26
	v_add_co_u32_e32 v28, vcc, s8, v0
	v_mul_lo_u32 v0, v24, s6
	v_addc_co_u32_e32 v29, vcc, v3, v1, vcc
	v_ashrrev_i32_e32 v1, 31, v0
	v_lshlrev_b64 v[0:1], 3, v[0:1]
	v_mov_b32_e32 v3, s3
	v_add_co_u32_e32 v30, vcc, s2, v0
	v_addc_co_u32_e32 v31, vcc, v3, v1, vcc
	v_and_b32_e32 v1, 15, v22
	v_mul_lo_u32 v0, v1, s14
	v_lshl_or_b32 v3, v1, 2, v32
	v_mul_lo_u32 v2, v1, s26
	v_mad_u64_u32 v[8:9], s[18:19], s15, v32, v[0:1]
	v_mul_lo_u32 v0, s14, v21
	s_lshl_b32 s20, s15, 2
	v_mad_u64_u32 v[10:11], s[18:19], v26, s15, v[0:1]
	s_lshl_b32 s21, s14, 2
	v_mul_lo_u32 v0, s26, v21
	v_mad_u64_u32 v[14:15], s[14:15], s27, v32, v[2:3]
	v_mbcnt_hi_u32_b32 v2, -1, v27
	v_cmp_lt_i32_e64 s[6:7], v1, v20
	v_cmp_lt_i32_e64 s[8:9], v1, v25
	v_mad_u64_u32 v[12:13], s[14:15], v26, s27, v[0:1]
	v_pk_mov_b32 v[0:1], 0, 0
	v_and_or_b32 v2, v2, 64, v3
	v_cmp_lt_i32_e64 s[2:3], v26, v20
	s_lshl_b32 s24, s26, 2
	s_lshl_b32 s25, s27, 2
	s_mov_b32 s26, 0
	v_lshlrev_b32_e32 v33, 2, v2
	v_pk_mov_b32 v[2:3], v[0:1], v[0:1] op_sel:[0,1]
	v_pk_mov_b32 v[4:5], v[0:1], v[0:1] op_sel:[0,1]
	;; [unrolled: 1-line block ×3, first 2 shown]
	s_branch .LBB9_6
.LBB9_3:                                ;   in Loop: Header=BB9_6 Depth=1
	s_or_b64 exec, exec, s[18:19]
.LBB9_4:                                ;   in Loop: Header=BB9_6 Depth=1
	s_or_b64 exec, exec, s[14:15]
	s_waitcnt vmcnt(0)
	ds_bpermute_b32 v18, v33, v18
	ds_bpermute_b32 v19, v33, v19
.LBB9_5:                                ;   in Loop: Header=BB9_6 Depth=1
	s_waitcnt vmcnt(0) lgkmcnt(0)
	v_mfma_f64_16x16x4f64 v[0:7], v[16:17], v[18:19], v[0:7]
	s_add_i32 s26, s26, 4
	s_cmp_ge_i32 s26, s33
	v_add_u32_e32 v8, s20, v8
	v_add_u32_e32 v10, s21, v10
	;; [unrolled: 1-line block ×4, first 2 shown]
	s_cbranch_scc1 .LBB9_28
.LBB9_6:                                ; =>This Inner Loop Header: Depth=1
	s_and_b64 vcc, exec, s[12:13]
	s_cbranch_vccz .LBB9_18
; %bb.7:                                ;   in Loop: Header=BB9_6 Depth=1
	v_pk_mov_b32 v[16:17], 0, 0
	s_and_saveexec_b64 s[14:15], s[2:3]
	s_cbranch_execz .LBB9_11
; %bb.8:                                ;   in Loop: Header=BB9_6 Depth=1
	v_add_u32_e32 v9, s26, v21
	v_cmp_gt_i32_e32 vcc, s33, v9
	v_pk_mov_b32 v[16:17], 0, 0
	s_and_saveexec_b64 s[18:19], vcc
	s_cbranch_execz .LBB9_10
; %bb.9:                                ;   in Loop: Header=BB9_6 Depth=1
	v_ashrrev_i32_e32 v11, 31, v10
	v_lshlrev_b64 v[16:17], 3, v[10:11]
	v_add_co_u32_e32 v16, vcc, v28, v16
	v_addc_co_u32_e32 v17, vcc, v29, v17, vcc
	global_load_dwordx2 v[16:17], v[16:17], off
.LBB9_10:                               ;   in Loop: Header=BB9_6 Depth=1
	s_or_b64 exec, exec, s[18:19]
.LBB9_11:                               ;   in Loop: Header=BB9_6 Depth=1
	s_or_b64 exec, exec, s[14:15]
	s_waitcnt vmcnt(0)
	ds_bpermute_b32 v16, v33, v16
	ds_bpermute_b32 v17, v33, v17
.LBB9_12:                               ;   in Loop: Header=BB9_6 Depth=1
	s_and_b64 vcc, exec, s[16:17]
	s_cbranch_vccz .LBB9_24
.LBB9_13:                               ;   in Loop: Header=BB9_6 Depth=1
	v_pk_mov_b32 v[18:19], 0, 0
	s_and_saveexec_b64 s[14:15], s[8:9]
	s_cbranch_execz .LBB9_17
; %bb.14:                               ;   in Loop: Header=BB9_6 Depth=1
	v_add_u32_e32 v9, s26, v32
	v_cmp_gt_i32_e32 vcc, s33, v9
	v_pk_mov_b32 v[18:19], 0, 0
	s_and_saveexec_b64 s[18:19], vcc
	s_cbranch_execz .LBB9_16
; %bb.15:                               ;   in Loop: Header=BB9_6 Depth=1
	v_ashrrev_i32_e32 v15, 31, v14
	v_lshlrev_b64 v[18:19], 3, v[14:15]
	v_add_co_u32_e32 v18, vcc, v30, v18
	v_addc_co_u32_e32 v19, vcc, v31, v19, vcc
	global_load_dwordx2 v[18:19], v[18:19], off
.LBB9_16:                               ;   in Loop: Header=BB9_6 Depth=1
	s_or_b64 exec, exec, s[18:19]
.LBB9_17:                               ;   in Loop: Header=BB9_6 Depth=1
	s_or_b64 exec, exec, s[14:15]
	s_cbranch_execnz .LBB9_5
	s_branch .LBB9_25
.LBB9_18:                               ;   in Loop: Header=BB9_6 Depth=1
                                        ; implicit-def: $vgpr16_vgpr17
	s_cbranch_execz .LBB9_12
; %bb.19:                               ;   in Loop: Header=BB9_6 Depth=1
	s_waitcnt lgkmcnt(0)
	v_pk_mov_b32 v[16:17], 0, 0
	s_and_saveexec_b64 s[14:15], s[6:7]
	s_cbranch_execz .LBB9_23
; %bb.20:                               ;   in Loop: Header=BB9_6 Depth=1
	v_add_u32_e32 v9, s26, v32
	v_cmp_gt_i32_e32 vcc, s33, v9
	v_pk_mov_b32 v[16:17], 0, 0
	s_and_saveexec_b64 s[18:19], vcc
	s_cbranch_execz .LBB9_22
; %bb.21:                               ;   in Loop: Header=BB9_6 Depth=1
	v_ashrrev_i32_e32 v9, 31, v8
	v_lshlrev_b64 v[16:17], 3, v[8:9]
	v_add_co_u32_e32 v16, vcc, v28, v16
	v_addc_co_u32_e32 v17, vcc, v29, v17, vcc
	global_load_dwordx2 v[16:17], v[16:17], off
.LBB9_22:                               ;   in Loop: Header=BB9_6 Depth=1
	s_or_b64 exec, exec, s[18:19]
.LBB9_23:                               ;   in Loop: Header=BB9_6 Depth=1
	s_or_b64 exec, exec, s[14:15]
	s_and_b64 vcc, exec, s[16:17]
	s_cbranch_vccnz .LBB9_13
.LBB9_24:                               ;   in Loop: Header=BB9_6 Depth=1
                                        ; implicit-def: $vgpr18_vgpr19
.LBB9_25:                               ;   in Loop: Header=BB9_6 Depth=1
	s_waitcnt vmcnt(0)
	v_pk_mov_b32 v[18:19], 0, 0
	s_and_saveexec_b64 s[14:15], s[0:1]
	s_cbranch_execz .LBB9_4
; %bb.26:                               ;   in Loop: Header=BB9_6 Depth=1
	v_add_u32_e32 v9, s26, v21
	v_cmp_gt_i32_e32 vcc, s33, v9
	v_pk_mov_b32 v[18:19], 0, 0
	s_and_saveexec_b64 s[18:19], vcc
	s_cbranch_execz .LBB9_3
; %bb.27:                               ;   in Loop: Header=BB9_6 Depth=1
	v_ashrrev_i32_e32 v13, 31, v12
	v_lshlrev_b64 v[18:19], 3, v[12:13]
	v_add_co_u32_e32 v18, vcc, v30, v18
	v_addc_co_u32_e32 v19, vcc, v31, v19, vcc
	global_load_dwordx2 v[18:19], v[18:19], off
	s_branch .LBB9_3
.LBB9_28:
	s_load_dwordx2 s[2:3], s[4:5], 0x78
	s_lshl_b64 s[0:1], s[28:29], 3
	s_waitcnt lgkmcnt(0)
	s_add_u32 s4, s30, s0
	s_addc_u32 s5, s31, s1
	v_mov_b32_e32 v11, s5
	v_mul_lo_u32 v8, v23, s2
	v_mad_u64_u32 v[8:9], s[0:1], v24, s3, v[8:9]
	v_ashrrev_i32_e32 v9, 31, v8
	v_lshlrev_b64 v[8:9], 3, v[8:9]
	v_add_co_u32_e32 v10, vcc, s4, v8
	v_addc_co_u32_e32 v11, vcc, v11, v9, vcc
	v_lshlrev_b32_e32 v8, 4, v22
	v_mbcnt_hi_u32_b32 v9, -1, v27
	v_and_b32_e32 v8, 48, v8
	v_and_b32_e32 v9, 64, v9
	v_or3_b32 v8, v8, v9, v26
	v_lshlrev_b32_e32 v12, 2, v8
	ds_bpermute_b32 v8, v12, v0
	ds_bpermute_b32 v9, v12, v1
	v_cmp_lt_i32_e32 vcc, v26, v25
	v_cmp_lt_i32_e64 s[0:1], v21, v20
	v_mul_lo_u32 v0, v26, s3
	s_and_b64 s[0:1], vcc, s[0:1]
	s_and_saveexec_b64 s[4:5], s[0:1]
	s_cbranch_execz .LBB9_30
; %bb.29:
	v_mad_u64_u32 v[14:15], s[0:1], v21, s2, v[0:1]
	v_ashrrev_i32_e32 v15, 31, v14
	v_lshlrev_b64 v[14:15], 3, v[14:15]
	v_add_co_u32_e64 v14, s[0:1], v10, v14
	v_addc_co_u32_e64 v15, s[0:1], v11, v15, s[0:1]
	global_load_dwordx2 v[16:17], v[14:15], off
	s_waitcnt vmcnt(0)
	v_mul_f64 v[16:17], s[22:23], v[16:17]
	s_waitcnt lgkmcnt(0)
	v_fmac_f64_e32 v[16:17], s[10:11], v[8:9]
	global_store_dwordx2 v[14:15], v[16:17], off
.LBB9_30:
	s_or_b64 exec, exec, s[4:5]
	ds_bpermute_b32 v2, v12, v2
	ds_bpermute_b32 v3, v12, v3
	v_or_b32_e32 v1, 4, v21
	v_cmp_lt_i32_e64 s[0:1], v1, v20
	s_and_b64 s[0:1], vcc, s[0:1]
	s_and_saveexec_b64 s[4:5], s[0:1]
	s_cbranch_execz .LBB9_32
; %bb.31:
	s_waitcnt lgkmcnt(2)
	v_mad_u64_u32 v[8:9], s[0:1], v1, s2, v[0:1]
	v_ashrrev_i32_e32 v9, 31, v8
	v_lshlrev_b64 v[8:9], 3, v[8:9]
	v_add_co_u32_e64 v8, s[0:1], v10, v8
	v_addc_co_u32_e64 v9, s[0:1], v11, v9, s[0:1]
	global_load_dwordx2 v[14:15], v[8:9], off
	s_waitcnt vmcnt(0)
	v_mul_f64 v[14:15], s[22:23], v[14:15]
	s_waitcnt lgkmcnt(0)
	v_fmac_f64_e32 v[14:15], s[10:11], v[2:3]
	global_store_dwordx2 v[8:9], v[14:15], off
.LBB9_32:
	s_or_b64 exec, exec, s[4:5]
	s_waitcnt lgkmcnt(1)
	ds_bpermute_b32 v2, v12, v4
	s_waitcnt lgkmcnt(1)
	ds_bpermute_b32 v3, v12, v5
	v_or_b32_e32 v1, 8, v21
	v_cmp_lt_i32_e64 s[0:1], v1, v20
	s_and_b64 s[0:1], vcc, s[0:1]
	s_and_saveexec_b64 s[4:5], s[0:1]
	s_cbranch_execz .LBB9_34
; %bb.33:
	v_mad_u64_u32 v[4:5], s[0:1], v1, s2, v[0:1]
	v_ashrrev_i32_e32 v5, 31, v4
	v_lshlrev_b64 v[4:5], 3, v[4:5]
	v_add_co_u32_e64 v4, s[0:1], v10, v4
	v_addc_co_u32_e64 v5, s[0:1], v11, v5, s[0:1]
	global_load_dwordx2 v[8:9], v[4:5], off
	s_waitcnt vmcnt(0)
	v_mul_f64 v[8:9], s[22:23], v[8:9]
	s_waitcnt lgkmcnt(0)
	v_fmac_f64_e32 v[8:9], s[10:11], v[2:3]
	global_store_dwordx2 v[4:5], v[8:9], off
.LBB9_34:
	s_or_b64 exec, exec, s[4:5]
	s_waitcnt lgkmcnt(1)
	ds_bpermute_b32 v2, v12, v6
	s_waitcnt lgkmcnt(1)
	ds_bpermute_b32 v3, v12, v7
	v_or_b32_e32 v1, 12, v21
	v_cmp_lt_i32_e64 s[0:1], v1, v20
	s_and_b64 s[0:1], vcc, s[0:1]
	s_and_b64 exec, exec, s[0:1]
	s_cbranch_execz .LBB9_36
; %bb.35:
	v_mad_u64_u32 v[0:1], s[0:1], v1, s2, v[0:1]
	v_ashrrev_i32_e32 v1, 31, v0
	v_lshlrev_b64 v[0:1], 3, v[0:1]
	v_add_co_u32_e32 v0, vcc, v10, v0
	v_addc_co_u32_e32 v1, vcc, v11, v1, vcc
	global_load_dwordx2 v[4:5], v[0:1], off
	s_waitcnt vmcnt(0)
	v_mul_f64 v[4:5], s[22:23], v[4:5]
	s_waitcnt lgkmcnt(0)
	v_fmac_f64_e32 v[4:5], s[10:11], v[2:3]
	global_store_dwordx2 v[0:1], v[4:5], off
.LBB9_36:
	s_endpgm
	.section	.rodata,"a",@progbits
	.p2align	6, 0x0
	.amdhsa_kernel _ZN9rocsolver6v33100L16mfma_gemm_kernelIdiPKdPdPKS4_S6_EEv18rocblas_operation_S7_T0_S8_S8_T1_T2_lS8_S8_lT3_lS8_S8_lS9_T4_lS8_S8_l
		.amdhsa_group_segment_fixed_size 0
		.amdhsa_private_segment_fixed_size 0
		.amdhsa_kernarg_size 392
		.amdhsa_user_sgpr_count 6
		.amdhsa_user_sgpr_private_segment_buffer 1
		.amdhsa_user_sgpr_dispatch_ptr 0
		.amdhsa_user_sgpr_queue_ptr 0
		.amdhsa_user_sgpr_kernarg_segment_ptr 1
		.amdhsa_user_sgpr_dispatch_id 0
		.amdhsa_user_sgpr_flat_scratch_init 0
		.amdhsa_user_sgpr_kernarg_preload_length 0
		.amdhsa_user_sgpr_kernarg_preload_offset 0
		.amdhsa_user_sgpr_private_segment_size 0
		.amdhsa_uses_dynamic_stack 0
		.amdhsa_system_sgpr_private_segment_wavefront_offset 0
		.amdhsa_system_sgpr_workgroup_id_x 1
		.amdhsa_system_sgpr_workgroup_id_y 1
		.amdhsa_system_sgpr_workgroup_id_z 1
		.amdhsa_system_sgpr_workgroup_info 0
		.amdhsa_system_vgpr_workitem_id 1
		.amdhsa_next_free_vgpr 34
		.amdhsa_next_free_sgpr 35
		.amdhsa_accum_offset 36
		.amdhsa_reserve_vcc 1
		.amdhsa_reserve_flat_scratch 0
		.amdhsa_float_round_mode_32 0
		.amdhsa_float_round_mode_16_64 0
		.amdhsa_float_denorm_mode_32 3
		.amdhsa_float_denorm_mode_16_64 3
		.amdhsa_dx10_clamp 1
		.amdhsa_ieee_mode 1
		.amdhsa_fp16_overflow 0
		.amdhsa_tg_split 0
		.amdhsa_exception_fp_ieee_invalid_op 0
		.amdhsa_exception_fp_denorm_src 0
		.amdhsa_exception_fp_ieee_div_zero 0
		.amdhsa_exception_fp_ieee_overflow 0
		.amdhsa_exception_fp_ieee_underflow 0
		.amdhsa_exception_fp_ieee_inexact 0
		.amdhsa_exception_int_div_zero 0
	.end_amdhsa_kernel
	.section	.text._ZN9rocsolver6v33100L16mfma_gemm_kernelIdiPKdPdPKS4_S6_EEv18rocblas_operation_S7_T0_S8_S8_T1_T2_lS8_S8_lT3_lS8_S8_lS9_T4_lS8_S8_l,"axG",@progbits,_ZN9rocsolver6v33100L16mfma_gemm_kernelIdiPKdPdPKS4_S6_EEv18rocblas_operation_S7_T0_S8_S8_T1_T2_lS8_S8_lT3_lS8_S8_lS9_T4_lS8_S8_l,comdat
.Lfunc_end9:
	.size	_ZN9rocsolver6v33100L16mfma_gemm_kernelIdiPKdPdPKS4_S6_EEv18rocblas_operation_S7_T0_S8_S8_T1_T2_lS8_S8_lT3_lS8_S8_lS9_T4_lS8_S8_l, .Lfunc_end9-_ZN9rocsolver6v33100L16mfma_gemm_kernelIdiPKdPdPKS4_S6_EEv18rocblas_operation_S7_T0_S8_S8_T1_T2_lS8_S8_lT3_lS8_S8_lS9_T4_lS8_S8_l
                                        ; -- End function
	.section	.AMDGPU.csdata,"",@progbits
; Kernel info:
; codeLenInByte = 1708
; NumSgprs: 39
; NumVgprs: 34
; NumAgprs: 0
; TotalNumVgprs: 34
; ScratchSize: 0
; MemoryBound: 0
; FloatMode: 240
; IeeeMode: 1
; LDSByteSize: 0 bytes/workgroup (compile time only)
; SGPRBlocks: 4
; VGPRBlocks: 4
; NumSGPRsForWavesPerEU: 39
; NumVGPRsForWavesPerEU: 34
; AccumOffset: 36
; Occupancy: 8
; WaveLimiterHint : 1
; COMPUTE_PGM_RSRC2:SCRATCH_EN: 0
; COMPUTE_PGM_RSRC2:USER_SGPR: 6
; COMPUTE_PGM_RSRC2:TRAP_HANDLER: 0
; COMPUTE_PGM_RSRC2:TGID_X_EN: 1
; COMPUTE_PGM_RSRC2:TGID_Y_EN: 1
; COMPUTE_PGM_RSRC2:TGID_Z_EN: 1
; COMPUTE_PGM_RSRC2:TIDIG_COMP_CNT: 1
; COMPUTE_PGM_RSRC3_GFX90A:ACCUM_OFFSET: 8
; COMPUTE_PGM_RSRC3_GFX90A:TG_SPLIT: 0
	.section	.text._ZN9rocsolver6v33100L16mfma_gemm_kernelIdidPdPKS2_S4_EEv18rocblas_operation_S5_T0_S6_S6_T1_T2_lS6_S6_lT3_lS6_S6_lS7_T4_lS6_S6_l,"axG",@progbits,_ZN9rocsolver6v33100L16mfma_gemm_kernelIdidPdPKS2_S4_EEv18rocblas_operation_S5_T0_S6_S6_T1_T2_lS6_S6_lT3_lS6_S6_lS7_T4_lS6_S6_l,comdat
	.globl	_ZN9rocsolver6v33100L16mfma_gemm_kernelIdidPdPKS2_S4_EEv18rocblas_operation_S5_T0_S6_S6_T1_T2_lS6_S6_lT3_lS6_S6_lS7_T4_lS6_S6_l ; -- Begin function _ZN9rocsolver6v33100L16mfma_gemm_kernelIdidPdPKS2_S4_EEv18rocblas_operation_S5_T0_S6_S6_T1_T2_lS6_S6_lT3_lS6_S6_lS7_T4_lS6_S6_l
	.p2align	8
	.type	_ZN9rocsolver6v33100L16mfma_gemm_kernelIdidPdPKS2_S4_EEv18rocblas_operation_S5_T0_S6_S6_T1_T2_lS6_S6_lT3_lS6_S6_lS7_T4_lS6_S6_l,@function
_ZN9rocsolver6v33100L16mfma_gemm_kernelIdidPdPKS2_S4_EEv18rocblas_operation_S5_T0_S6_S6_T1_T2_lS6_S6_lT3_lS6_S6_lS7_T4_lS6_S6_l: ; @_ZN9rocsolver6v33100L16mfma_gemm_kernelIdidPdPKS2_S4_EEv18rocblas_operation_S5_T0_S6_S6_T1_T2_lS6_S6_lT3_lS6_S6_lS7_T4_lS6_S6_l
; %bb.0:
	s_load_dword s0, s[4:5], 0x94
	s_load_dwordx4 s[28:31], s[4:5], 0x0
	v_and_b32_e32 v22, 0x3ff, v0
	v_bfe_u32 v0, v0, 10, 10
	v_lshrrev_b32_e32 v1, 6, v22
	s_waitcnt lgkmcnt(0)
	s_lshr_b32 s1, s0, 16
	s_bfe_u32 s0, s0, 0xa0006
	s_mul_i32 s7, s7, s1
	s_mul_i32 s6, s6, s0
	v_add_u32_e32 v0, s7, v0
	v_add_lshl_u32 v23, s6, v1, 4
	v_lshlrev_b32_e32 v24, 4, v0
	v_cmp_gt_i32_e32 vcc, s30, v23
	v_cmp_gt_i32_e64 s[0:1], s31, v24
	s_and_b64 s[0:1], vcc, s[0:1]
	s_and_saveexec_b64 s[2:3], s[0:1]
	s_cbranch_execz .LBB10_36
; %bb.1:
	s_ashr_i32 s0, s30, 31
	s_lshr_b32 s0, s0, 28
	s_add_i32 s0, s30, s0
	s_and_b32 s0, s0, -16
	s_sub_i32 s0, s30, s0
	s_load_dword s33, s[4:5], 0x10
	s_load_dwordx4 s[20:23], s[4:5], 0x18
	s_load_dwordx2 s[10:11], s[4:5], 0x70
	s_load_dwordx2 s[2:3], s[4:5], 0x28
	s_load_dwordx4 s[24:27], s[4:5], 0x60
	v_mov_b32_e32 v1, s0
	s_ashr_i32 s0, s31, 31
	s_lshr_b32 s0, s0, 28
	s_add_i32 s0, s31, s0
	v_add_u32_e32 v0, 16, v23
	s_and_b32 s0, s0, -16
	s_ashr_i32 s9, s8, 31
	v_cmp_lt_i32_e32 vcc, s30, v0
	s_sub_i32 s0, s31, s0
	s_lshl_b64 s[6:7], s[8:9], 3
	v_cndmask_b32_e32 v20, 16, v1, vcc
	v_mov_b32_e32 v1, s0
	s_waitcnt lgkmcnt(0)
	s_add_u32 s0, s26, s6
	s_addc_u32 s1, s27, s7
	s_load_dwordx2 s[26:27], s[0:1], 0x0
	v_add_u32_e32 v0, 16, v24
	v_cmp_lt_i32_e32 vcc, s31, v0
	v_cndmask_b32_e32 v25, 16, v1, vcc
	v_bfe_u32 v26, v22, 2, 4
	v_pk_mov_b32 v[6:7], 0, 0
	v_and_b32_e32 v21, 3, v22
	s_cmp_lt_i32 s33, 1
	v_cmp_lt_i32_e64 s[0:1], v26, v25
	v_mbcnt_lo_u32_b32 v27, -1, 0
	v_pk_mov_b32 v[4:5], v[6:7], v[6:7] op_sel:[0,1]
	v_pk_mov_b32 v[2:3], v[6:7], v[6:7] op_sel:[0,1]
	;; [unrolled: 1-line block ×3, first 2 shown]
	s_cbranch_scc1 .LBB10_28
; %bb.2:
	s_load_dwordx8 s[12:19], s[4:5], 0x38
	v_and_b32_e32 v2, 63, v22
	v_lshrrev_b32_e32 v32, 4, v2
	s_waitcnt lgkmcnt(0)
	s_mul_i32 s13, s8, s13
	s_mul_hi_u32 s30, s8, s12
	s_mul_i32 s9, s9, s12
	s_mul_i32 s8, s8, s12
	s_add_i32 s12, s30, s13
	s_add_i32 s9, s12, s9
	s_lshl_b64 s[8:9], s[8:9], 3
	s_add_u32 s8, s22, s8
	s_addc_u32 s9, s23, s9
	s_lshl_b64 s[2:3], s[2:3], 3
	s_add_u32 s8, s8, s2
	s_addc_u32 s9, s9, s3
	s_add_u32 s2, s14, s6
	s_addc_u32 s3, s15, s7
	s_load_dwordx2 s[2:3], s[2:3], 0x0
	s_lshl_b64 s[6:7], s[16:17], 3
	s_load_dwordx2 s[30:31], s[4:5], 0x30
	v_mov_b32_e32 v3, s9
	s_waitcnt lgkmcnt(0)
	s_add_u32 s2, s2, s6
	s_addc_u32 s3, s3, s7
	s_cmpk_lg_i32 s28, 0x6f
	s_cselect_b64 s[12:13], -1, 0
	s_cmpk_eq_i32 s28, 0x6f
	s_cselect_b32 s6, s30, s31
	v_mul_lo_u32 v0, v23, s6
	s_cmpk_lg_i32 s29, 0x6f
	v_ashrrev_i32_e32 v1, 31, v0
	s_cselect_b64 s[14:15], -1, 0
	s_cmpk_eq_i32 s29, 0x6f
	v_lshlrev_b64 v[0:1], 3, v[0:1]
	s_cselect_b32 s6, s19, s18
	v_add_co_u32_e32 v28, vcc, s8, v0
	v_mul_lo_u32 v0, v24, s6
	v_addc_co_u32_e32 v29, vcc, v3, v1, vcc
	v_ashrrev_i32_e32 v1, 31, v0
	v_lshlrev_b64 v[0:1], 3, v[0:1]
	v_mov_b32_e32 v3, s3
	v_add_co_u32_e32 v30, vcc, s2, v0
	v_addc_co_u32_e32 v31, vcc, v3, v1, vcc
	v_and_b32_e32 v1, 15, v22
	v_mul_lo_u32 v0, v1, s30
	v_lshl_or_b32 v3, v1, 2, v32
	v_mul_lo_u32 v2, v1, s18
	v_mad_u64_u32 v[8:9], s[16:17], s31, v32, v[0:1]
	v_mul_lo_u32 v0, s30, v21
	v_mad_u64_u32 v[10:11], s[16:17], v26, s31, v[0:1]
	;; [unrolled: 2-line block ×3, first 2 shown]
	v_mbcnt_hi_u32_b32 v2, -1, v27
	v_cmp_lt_i32_e64 s[6:7], v1, v20
	v_cmp_lt_i32_e64 s[8:9], v1, v25
	v_mad_u64_u32 v[12:13], s[16:17], v26, s19, v[0:1]
	v_pk_mov_b32 v[0:1], 0, 0
	v_and_or_b32 v2, v2, 64, v3
	v_cmp_lt_i32_e64 s[2:3], v26, v20
	s_lshl_b32 s22, s31, 2
	s_lshl_b32 s23, s30, 2
	;; [unrolled: 1-line block ×4, first 2 shown]
	s_mov_b32 s30, 0
	v_lshlrev_b32_e32 v33, 2, v2
	v_pk_mov_b32 v[2:3], v[0:1], v[0:1] op_sel:[0,1]
	v_pk_mov_b32 v[4:5], v[0:1], v[0:1] op_sel:[0,1]
	;; [unrolled: 1-line block ×3, first 2 shown]
	s_branch .LBB10_6
.LBB10_3:                               ;   in Loop: Header=BB10_6 Depth=1
	s_or_b64 exec, exec, s[18:19]
.LBB10_4:                               ;   in Loop: Header=BB10_6 Depth=1
	s_or_b64 exec, exec, s[16:17]
	s_waitcnt vmcnt(0)
	ds_bpermute_b32 v18, v33, v18
	ds_bpermute_b32 v19, v33, v19
.LBB10_5:                               ;   in Loop: Header=BB10_6 Depth=1
	s_waitcnt vmcnt(0) lgkmcnt(0)
	v_mfma_f64_16x16x4f64 v[0:7], v[16:17], v[18:19], v[0:7]
	s_add_i32 s30, s30, 4
	s_cmp_ge_i32 s30, s33
	v_add_u32_e32 v8, s22, v8
	v_add_u32_e32 v10, s23, v10
	;; [unrolled: 1-line block ×4, first 2 shown]
	s_cbranch_scc1 .LBB10_28
.LBB10_6:                               ; =>This Inner Loop Header: Depth=1
	s_and_b64 vcc, exec, s[12:13]
	s_cbranch_vccz .LBB10_18
; %bb.7:                                ;   in Loop: Header=BB10_6 Depth=1
	v_pk_mov_b32 v[16:17], 0, 0
	s_and_saveexec_b64 s[16:17], s[2:3]
	s_cbranch_execz .LBB10_11
; %bb.8:                                ;   in Loop: Header=BB10_6 Depth=1
	v_add_u32_e32 v9, s30, v21
	v_cmp_gt_i32_e32 vcc, s33, v9
	v_pk_mov_b32 v[16:17], 0, 0
	s_and_saveexec_b64 s[18:19], vcc
	s_cbranch_execz .LBB10_10
; %bb.9:                                ;   in Loop: Header=BB10_6 Depth=1
	v_ashrrev_i32_e32 v11, 31, v10
	v_lshlrev_b64 v[16:17], 3, v[10:11]
	v_add_co_u32_e32 v16, vcc, v28, v16
	v_addc_co_u32_e32 v17, vcc, v29, v17, vcc
	global_load_dwordx2 v[16:17], v[16:17], off
.LBB10_10:                              ;   in Loop: Header=BB10_6 Depth=1
	s_or_b64 exec, exec, s[18:19]
.LBB10_11:                              ;   in Loop: Header=BB10_6 Depth=1
	s_or_b64 exec, exec, s[16:17]
	s_waitcnt vmcnt(0)
	ds_bpermute_b32 v16, v33, v16
	ds_bpermute_b32 v17, v33, v17
.LBB10_12:                              ;   in Loop: Header=BB10_6 Depth=1
	s_and_b64 vcc, exec, s[14:15]
	s_cbranch_vccz .LBB10_24
.LBB10_13:                              ;   in Loop: Header=BB10_6 Depth=1
	v_pk_mov_b32 v[18:19], 0, 0
	s_and_saveexec_b64 s[16:17], s[8:9]
	s_cbranch_execz .LBB10_17
; %bb.14:                               ;   in Loop: Header=BB10_6 Depth=1
	v_add_u32_e32 v9, s30, v32
	v_cmp_gt_i32_e32 vcc, s33, v9
	v_pk_mov_b32 v[18:19], 0, 0
	s_and_saveexec_b64 s[18:19], vcc
	s_cbranch_execz .LBB10_16
; %bb.15:                               ;   in Loop: Header=BB10_6 Depth=1
	v_ashrrev_i32_e32 v15, 31, v14
	v_lshlrev_b64 v[18:19], 3, v[14:15]
	v_add_co_u32_e32 v18, vcc, v30, v18
	v_addc_co_u32_e32 v19, vcc, v31, v19, vcc
	global_load_dwordx2 v[18:19], v[18:19], off
.LBB10_16:                              ;   in Loop: Header=BB10_6 Depth=1
	s_or_b64 exec, exec, s[18:19]
.LBB10_17:                              ;   in Loop: Header=BB10_6 Depth=1
	s_or_b64 exec, exec, s[16:17]
	s_cbranch_execnz .LBB10_5
	s_branch .LBB10_25
.LBB10_18:                              ;   in Loop: Header=BB10_6 Depth=1
                                        ; implicit-def: $vgpr16_vgpr17
	s_cbranch_execz .LBB10_12
; %bb.19:                               ;   in Loop: Header=BB10_6 Depth=1
	s_waitcnt lgkmcnt(0)
	v_pk_mov_b32 v[16:17], 0, 0
	s_and_saveexec_b64 s[16:17], s[6:7]
	s_cbranch_execz .LBB10_23
; %bb.20:                               ;   in Loop: Header=BB10_6 Depth=1
	v_add_u32_e32 v9, s30, v32
	v_cmp_gt_i32_e32 vcc, s33, v9
	v_pk_mov_b32 v[16:17], 0, 0
	s_and_saveexec_b64 s[18:19], vcc
	s_cbranch_execz .LBB10_22
; %bb.21:                               ;   in Loop: Header=BB10_6 Depth=1
	v_ashrrev_i32_e32 v9, 31, v8
	v_lshlrev_b64 v[16:17], 3, v[8:9]
	v_add_co_u32_e32 v16, vcc, v28, v16
	v_addc_co_u32_e32 v17, vcc, v29, v17, vcc
	global_load_dwordx2 v[16:17], v[16:17], off
.LBB10_22:                              ;   in Loop: Header=BB10_6 Depth=1
	s_or_b64 exec, exec, s[18:19]
.LBB10_23:                              ;   in Loop: Header=BB10_6 Depth=1
	s_or_b64 exec, exec, s[16:17]
	s_and_b64 vcc, exec, s[14:15]
	s_cbranch_vccnz .LBB10_13
.LBB10_24:                              ;   in Loop: Header=BB10_6 Depth=1
                                        ; implicit-def: $vgpr18_vgpr19
.LBB10_25:                              ;   in Loop: Header=BB10_6 Depth=1
	s_waitcnt vmcnt(0)
	v_pk_mov_b32 v[18:19], 0, 0
	s_and_saveexec_b64 s[16:17], s[0:1]
	s_cbranch_execz .LBB10_4
; %bb.26:                               ;   in Loop: Header=BB10_6 Depth=1
	v_add_u32_e32 v9, s30, v21
	v_cmp_gt_i32_e32 vcc, s33, v9
	v_pk_mov_b32 v[18:19], 0, 0
	s_and_saveexec_b64 s[18:19], vcc
	s_cbranch_execz .LBB10_3
; %bb.27:                               ;   in Loop: Header=BB10_6 Depth=1
	v_ashrrev_i32_e32 v13, 31, v12
	v_lshlrev_b64 v[18:19], 3, v[12:13]
	v_add_co_u32_e32 v18, vcc, v30, v18
	v_addc_co_u32_e32 v19, vcc, v31, v19, vcc
	global_load_dwordx2 v[18:19], v[18:19], off
	s_branch .LBB10_3
.LBB10_28:
	s_load_dwordx2 s[2:3], s[4:5], 0x78
	s_lshl_b64 s[0:1], s[10:11], 3
	s_waitcnt lgkmcnt(0)
	s_add_u32 s4, s26, s0
	s_addc_u32 s5, s27, s1
	v_mov_b32_e32 v11, s5
	v_mul_lo_u32 v8, v23, s2
	v_mad_u64_u32 v[8:9], s[0:1], v24, s3, v[8:9]
	v_ashrrev_i32_e32 v9, 31, v8
	v_lshlrev_b64 v[8:9], 3, v[8:9]
	v_add_co_u32_e32 v10, vcc, s4, v8
	v_addc_co_u32_e32 v11, vcc, v11, v9, vcc
	v_lshlrev_b32_e32 v8, 4, v22
	v_mbcnt_hi_u32_b32 v9, -1, v27
	v_and_b32_e32 v8, 48, v8
	v_and_b32_e32 v9, 64, v9
	v_or3_b32 v8, v8, v9, v26
	v_lshlrev_b32_e32 v12, 2, v8
	ds_bpermute_b32 v8, v12, v0
	ds_bpermute_b32 v9, v12, v1
	v_cmp_lt_i32_e32 vcc, v26, v25
	v_cmp_lt_i32_e64 s[0:1], v21, v20
	v_mul_lo_u32 v0, v26, s3
	s_and_b64 s[0:1], vcc, s[0:1]
	s_and_saveexec_b64 s[4:5], s[0:1]
	s_cbranch_execz .LBB10_30
; %bb.29:
	v_mad_u64_u32 v[14:15], s[0:1], v21, s2, v[0:1]
	v_ashrrev_i32_e32 v15, 31, v14
	v_lshlrev_b64 v[14:15], 3, v[14:15]
	v_add_co_u32_e64 v14, s[0:1], v10, v14
	v_addc_co_u32_e64 v15, s[0:1], v11, v15, s[0:1]
	global_load_dwordx2 v[16:17], v[14:15], off
	s_waitcnt vmcnt(0)
	v_mul_f64 v[16:17], v[16:17], s[24:25]
	s_waitcnt lgkmcnt(0)
	v_fmac_f64_e32 v[16:17], s[20:21], v[8:9]
	global_store_dwordx2 v[14:15], v[16:17], off
.LBB10_30:
	s_or_b64 exec, exec, s[4:5]
	ds_bpermute_b32 v2, v12, v2
	ds_bpermute_b32 v3, v12, v3
	v_or_b32_e32 v1, 4, v21
	v_cmp_lt_i32_e64 s[0:1], v1, v20
	s_and_b64 s[0:1], vcc, s[0:1]
	s_and_saveexec_b64 s[4:5], s[0:1]
	s_cbranch_execz .LBB10_32
; %bb.31:
	s_waitcnt lgkmcnt(2)
	v_mad_u64_u32 v[8:9], s[0:1], v1, s2, v[0:1]
	v_ashrrev_i32_e32 v9, 31, v8
	v_lshlrev_b64 v[8:9], 3, v[8:9]
	v_add_co_u32_e64 v8, s[0:1], v10, v8
	v_addc_co_u32_e64 v9, s[0:1], v11, v9, s[0:1]
	global_load_dwordx2 v[14:15], v[8:9], off
	s_waitcnt vmcnt(0)
	v_mul_f64 v[14:15], v[14:15], s[24:25]
	s_waitcnt lgkmcnt(0)
	v_fmac_f64_e32 v[14:15], s[20:21], v[2:3]
	global_store_dwordx2 v[8:9], v[14:15], off
.LBB10_32:
	s_or_b64 exec, exec, s[4:5]
	s_waitcnt lgkmcnt(1)
	ds_bpermute_b32 v2, v12, v4
	s_waitcnt lgkmcnt(1)
	ds_bpermute_b32 v3, v12, v5
	v_or_b32_e32 v1, 8, v21
	v_cmp_lt_i32_e64 s[0:1], v1, v20
	s_and_b64 s[0:1], vcc, s[0:1]
	s_and_saveexec_b64 s[4:5], s[0:1]
	s_cbranch_execz .LBB10_34
; %bb.33:
	v_mad_u64_u32 v[4:5], s[0:1], v1, s2, v[0:1]
	v_ashrrev_i32_e32 v5, 31, v4
	v_lshlrev_b64 v[4:5], 3, v[4:5]
	v_add_co_u32_e64 v4, s[0:1], v10, v4
	v_addc_co_u32_e64 v5, s[0:1], v11, v5, s[0:1]
	global_load_dwordx2 v[8:9], v[4:5], off
	s_waitcnt vmcnt(0)
	v_mul_f64 v[8:9], v[8:9], s[24:25]
	s_waitcnt lgkmcnt(0)
	v_fmac_f64_e32 v[8:9], s[20:21], v[2:3]
	global_store_dwordx2 v[4:5], v[8:9], off
.LBB10_34:
	s_or_b64 exec, exec, s[4:5]
	s_waitcnt lgkmcnt(1)
	ds_bpermute_b32 v2, v12, v6
	s_waitcnt lgkmcnt(1)
	ds_bpermute_b32 v3, v12, v7
	v_or_b32_e32 v1, 12, v21
	v_cmp_lt_i32_e64 s[0:1], v1, v20
	s_and_b64 s[0:1], vcc, s[0:1]
	s_and_b64 exec, exec, s[0:1]
	s_cbranch_execz .LBB10_36
; %bb.35:
	v_mad_u64_u32 v[0:1], s[0:1], v1, s2, v[0:1]
	v_ashrrev_i32_e32 v1, 31, v0
	v_lshlrev_b64 v[0:1], 3, v[0:1]
	v_add_co_u32_e32 v0, vcc, v10, v0
	v_addc_co_u32_e32 v1, vcc, v11, v1, vcc
	global_load_dwordx2 v[4:5], v[0:1], off
	s_waitcnt vmcnt(0)
	v_mul_f64 v[4:5], v[4:5], s[24:25]
	s_waitcnt lgkmcnt(0)
	v_fmac_f64_e32 v[4:5], s[20:21], v[2:3]
	global_store_dwordx2 v[0:1], v[4:5], off
.LBB10_36:
	s_endpgm
	.section	.rodata,"a",@progbits
	.p2align	6, 0x0
	.amdhsa_kernel _ZN9rocsolver6v33100L16mfma_gemm_kernelIdidPdPKS2_S4_EEv18rocblas_operation_S5_T0_S6_S6_T1_T2_lS6_S6_lT3_lS6_S6_lS7_T4_lS6_S6_l
		.amdhsa_group_segment_fixed_size 0
		.amdhsa_private_segment_fixed_size 0
		.amdhsa_kernarg_size 392
		.amdhsa_user_sgpr_count 6
		.amdhsa_user_sgpr_private_segment_buffer 1
		.amdhsa_user_sgpr_dispatch_ptr 0
		.amdhsa_user_sgpr_queue_ptr 0
		.amdhsa_user_sgpr_kernarg_segment_ptr 1
		.amdhsa_user_sgpr_dispatch_id 0
		.amdhsa_user_sgpr_flat_scratch_init 0
		.amdhsa_user_sgpr_kernarg_preload_length 0
		.amdhsa_user_sgpr_kernarg_preload_offset 0
		.amdhsa_user_sgpr_private_segment_size 0
		.amdhsa_uses_dynamic_stack 0
		.amdhsa_system_sgpr_private_segment_wavefront_offset 0
		.amdhsa_system_sgpr_workgroup_id_x 1
		.amdhsa_system_sgpr_workgroup_id_y 1
		.amdhsa_system_sgpr_workgroup_id_z 1
		.amdhsa_system_sgpr_workgroup_info 0
		.amdhsa_system_vgpr_workitem_id 1
		.amdhsa_next_free_vgpr 34
		.amdhsa_next_free_sgpr 34
		.amdhsa_accum_offset 36
		.amdhsa_reserve_vcc 1
		.amdhsa_reserve_flat_scratch 0
		.amdhsa_float_round_mode_32 0
		.amdhsa_float_round_mode_16_64 0
		.amdhsa_float_denorm_mode_32 3
		.amdhsa_float_denorm_mode_16_64 3
		.amdhsa_dx10_clamp 1
		.amdhsa_ieee_mode 1
		.amdhsa_fp16_overflow 0
		.amdhsa_tg_split 0
		.amdhsa_exception_fp_ieee_invalid_op 0
		.amdhsa_exception_fp_denorm_src 0
		.amdhsa_exception_fp_ieee_div_zero 0
		.amdhsa_exception_fp_ieee_overflow 0
		.amdhsa_exception_fp_ieee_underflow 0
		.amdhsa_exception_fp_ieee_inexact 0
		.amdhsa_exception_int_div_zero 0
	.end_amdhsa_kernel
	.section	.text._ZN9rocsolver6v33100L16mfma_gemm_kernelIdidPdPKS2_S4_EEv18rocblas_operation_S5_T0_S6_S6_T1_T2_lS6_S6_lT3_lS6_S6_lS7_T4_lS6_S6_l,"axG",@progbits,_ZN9rocsolver6v33100L16mfma_gemm_kernelIdidPdPKS2_S4_EEv18rocblas_operation_S5_T0_S6_S6_T1_T2_lS6_S6_lT3_lS6_S6_lS7_T4_lS6_S6_l,comdat
.Lfunc_end10:
	.size	_ZN9rocsolver6v33100L16mfma_gemm_kernelIdidPdPKS2_S4_EEv18rocblas_operation_S5_T0_S6_S6_T1_T2_lS6_S6_lT3_lS6_S6_lS7_T4_lS6_S6_l, .Lfunc_end10-_ZN9rocsolver6v33100L16mfma_gemm_kernelIdidPdPKS2_S4_EEv18rocblas_operation_S5_T0_S6_S6_T1_T2_lS6_S6_lT3_lS6_S6_lS7_T4_lS6_S6_l
                                        ; -- End function
	.section	.AMDGPU.csdata,"",@progbits
; Kernel info:
; codeLenInByte = 1700
; NumSgprs: 38
; NumVgprs: 34
; NumAgprs: 0
; TotalNumVgprs: 34
; ScratchSize: 0
; MemoryBound: 0
; FloatMode: 240
; IeeeMode: 1
; LDSByteSize: 0 bytes/workgroup (compile time only)
; SGPRBlocks: 4
; VGPRBlocks: 4
; NumSGPRsForWavesPerEU: 38
; NumVGPRsForWavesPerEU: 34
; AccumOffset: 36
; Occupancy: 8
; WaveLimiterHint : 1
; COMPUTE_PGM_RSRC2:SCRATCH_EN: 0
; COMPUTE_PGM_RSRC2:USER_SGPR: 6
; COMPUTE_PGM_RSRC2:TRAP_HANDLER: 0
; COMPUTE_PGM_RSRC2:TGID_X_EN: 1
; COMPUTE_PGM_RSRC2:TGID_Y_EN: 1
; COMPUTE_PGM_RSRC2:TGID_Z_EN: 1
; COMPUTE_PGM_RSRC2:TIDIG_COMP_CNT: 1
; COMPUTE_PGM_RSRC3_GFX90A:ACCUM_OFFSET: 8
; COMPUTE_PGM_RSRC3_GFX90A:TG_SPLIT: 0
	.section	.text._ZN9rocsolver6v33100L11gemm_kernelIdiPKdPdPKS4_S6_EEvT0_S7_S7_T1_bT2_lS7_S7_lbT3_lS7_S7_lS8_T4_lS7_S7_l,"axG",@progbits,_ZN9rocsolver6v33100L11gemm_kernelIdiPKdPdPKS4_S6_EEvT0_S7_S7_T1_bT2_lS7_S7_lbT3_lS7_S7_lS8_T4_lS7_S7_l,comdat
	.globl	_ZN9rocsolver6v33100L11gemm_kernelIdiPKdPdPKS4_S6_EEvT0_S7_S7_T1_bT2_lS7_S7_lbT3_lS7_S7_lS8_T4_lS7_S7_l ; -- Begin function _ZN9rocsolver6v33100L11gemm_kernelIdiPKdPdPKS4_S6_EEvT0_S7_S7_T1_bT2_lS7_S7_lbT3_lS7_S7_lS8_T4_lS7_S7_l
	.p2align	8
	.type	_ZN9rocsolver6v33100L11gemm_kernelIdiPKdPdPKS4_S6_EEvT0_S7_S7_T1_bT2_lS7_S7_lbT3_lS7_S7_lS8_T4_lS7_S7_l,@function
_ZN9rocsolver6v33100L11gemm_kernelIdiPKdPdPKS4_S6_EEvT0_S7_S7_T1_bT2_lS7_S7_lbT3_lS7_S7_lS8_T4_lS7_S7_l: ; @_ZN9rocsolver6v33100L11gemm_kernelIdiPKdPdPKS4_S6_EEvT0_S7_S7_T1_bT2_lS7_S7_lbT3_lS7_S7_lS8_T4_lS7_S7_l
; %bb.0:
	s_load_dword s9, s[4:5], 0x9c
	s_load_dwordx4 s[0:3], s[4:5], 0x0
	v_and_b32_e32 v1, 0x3ff, v0
	v_bfe_u32 v0, v0, 10, 10
	s_waitcnt lgkmcnt(0)
	s_and_b32 s3, s9, 0xffff
	s_lshr_b32 s9, s9, 16
	s_mul_i32 s7, s7, s9
	s_mul_i32 s6, s6, s3
	v_add_u32_e32 v6, s6, v1
	v_add_u32_e32 v7, s7, v0
	v_cmp_gt_i32_e32 vcc, s0, v6
	v_cmp_gt_i32_e64 s[0:1], s1, v7
	s_and_b64 s[0:1], vcc, s[0:1]
	s_and_saveexec_b64 s[6:7], s[0:1]
	s_cbranch_execz .LBB11_6
; %bb.1:
	s_load_dwordx4 s[20:23], s[4:5], 0x68
	s_load_dwordx2 s[6:7], s[4:5], 0x10
	s_load_dwordx2 s[0:1], s[4:5], 0x78
	s_ashr_i32 s9, s8, 31
	s_lshl_b64 s[24:25], s[8:9], 3
	s_waitcnt lgkmcnt(0)
	s_add_u32 s10, s22, s24
	s_addc_u32 s11, s23, s25
	s_load_dwordx2 s[10:11], s[10:11], 0x0
	s_cmp_lt_i32 s2, 1
	s_cbranch_scc1 .LBB11_4
; %bb.2:
	s_load_dwordx4 s[28:31], s[4:5], 0x48
	s_load_dwordx8 s[12:19], s[4:5], 0x20
	s_load_dwordx2 s[22:23], s[4:5], 0x58
	s_waitcnt lgkmcnt(0)
	s_add_u32 s24, s28, s24
	s_addc_u32 s25, s29, s25
	s_load_dwordx2 s[24:25], s[24:25], 0x0
	v_mul_lo_u32 v2, v7, s23
	s_lshl_b64 s[26:27], s[30:31], 3
	v_ashrrev_i32_e32 v3, 31, v2
	v_lshlrev_b64 v[2:3], 3, v[2:3]
	s_waitcnt lgkmcnt(0)
	s_add_u32 s3, s24, s26
	v_add_co_u32_e32 v2, vcc, s3, v2
	s_mul_i32 s3, s18, s9
	s_mul_hi_u32 s9, s18, s8
	v_mul_lo_u32 v0, v6, s16
	s_addc_u32 s16, s25, s27
	s_add_i32 s3, s9, s3
	s_mul_i32 s9, s19, s8
	s_ashr_i32 s23, s22, 31
	s_add_i32 s9, s3, s9
	s_mul_i32 s8, s18, s8
	s_lshl_b64 s[22:23], s[22:23], 3
	s_lshl_b64 s[8:9], s[8:9], 3
	;; [unrolled: 1-line block ×3, first 2 shown]
	s_add_u32 s3, s8, s14
	s_addc_u32 s8, s9, s15
	v_mov_b32_e32 v1, s16
	s_add_u32 s3, s12, s3
	v_addc_co_u32_e32 v3, vcc, v1, v3, vcc
	v_ashrrev_i32_e32 v1, 31, v0
	s_addc_u32 s8, s13, s8
	v_lshlrev_b64 v[0:1], 3, v[0:1]
	v_mov_b32_e32 v5, s8
	s_ashr_i32 s9, s17, 31
	s_mov_b32 s8, s17
	v_add_co_u32_e32 v4, vcc, s3, v0
	s_lshl_b64 s[8:9], s[8:9], 3
	v_addc_co_u32_e32 v5, vcc, v5, v1, vcc
	v_pk_mov_b32 v[0:1], 0, 0
	v_mov_b32_e32 v8, s23
	v_mov_b32_e32 v9, s9
.LBB11_3:                               ; =>This Inner Loop Header: Depth=1
	global_load_dwordx2 v[10:11], v[4:5], off
	global_load_dwordx2 v[12:13], v[2:3], off
	v_add_co_u32_e32 v2, vcc, s22, v2
	v_addc_co_u32_e32 v3, vcc, v3, v8, vcc
	v_add_co_u32_e32 v4, vcc, s8, v4
	s_add_i32 s2, s2, -1
	v_addc_co_u32_e32 v5, vcc, v5, v9, vcc
	s_cmp_eq_u32 s2, 0
	s_waitcnt vmcnt(0)
	v_fmac_f64_e32 v[0:1], v[10:11], v[12:13]
	s_cbranch_scc0 .LBB11_3
	s_branch .LBB11_5
.LBB11_4:
	v_pk_mov_b32 v[0:1], 0, 0
.LBB11_5:
	s_load_dwordx2 s[2:3], s[6:7], 0x0
	s_load_dwordx2 s[8:9], s[20:21], 0x0
                                        ; kill: killed $sgpr20_sgpr21
                                        ; kill: killed $sgpr6_sgpr7
	s_nop 0
	s_load_dwordx2 s[4:5], s[4:5], 0x80
	s_lshl_b64 s[0:1], s[0:1], 3
	s_waitcnt lgkmcnt(0)
	s_add_u32 s6, s10, s0
	s_addc_u32 s7, s11, s1
	v_mov_b32_e32 v4, s7
	v_mul_lo_u32 v2, v6, s4
	v_mad_u64_u32 v[2:3], s[0:1], v7, s5, v[2:3]
	v_ashrrev_i32_e32 v3, 31, v2
	v_lshlrev_b64 v[2:3], 3, v[2:3]
	v_add_co_u32_e32 v2, vcc, s6, v2
	v_addc_co_u32_e32 v3, vcc, v4, v3, vcc
	global_load_dwordx2 v[4:5], v[2:3], off
	s_waitcnt vmcnt(0)
	v_mul_f64 v[4:5], s[8:9], v[4:5]
	v_fmac_f64_e32 v[4:5], s[2:3], v[0:1]
	global_store_dwordx2 v[2:3], v[4:5], off
.LBB11_6:
	s_endpgm
	.section	.rodata,"a",@progbits
	.p2align	6, 0x0
	.amdhsa_kernel _ZN9rocsolver6v33100L11gemm_kernelIdiPKdPdPKS4_S6_EEvT0_S7_S7_T1_bT2_lS7_S7_lbT3_lS7_S7_lS8_T4_lS7_S7_l
		.amdhsa_group_segment_fixed_size 0
		.amdhsa_private_segment_fixed_size 0
		.amdhsa_kernarg_size 400
		.amdhsa_user_sgpr_count 6
		.amdhsa_user_sgpr_private_segment_buffer 1
		.amdhsa_user_sgpr_dispatch_ptr 0
		.amdhsa_user_sgpr_queue_ptr 0
		.amdhsa_user_sgpr_kernarg_segment_ptr 1
		.amdhsa_user_sgpr_dispatch_id 0
		.amdhsa_user_sgpr_flat_scratch_init 0
		.amdhsa_user_sgpr_kernarg_preload_length 0
		.amdhsa_user_sgpr_kernarg_preload_offset 0
		.amdhsa_user_sgpr_private_segment_size 0
		.amdhsa_uses_dynamic_stack 0
		.amdhsa_system_sgpr_private_segment_wavefront_offset 0
		.amdhsa_system_sgpr_workgroup_id_x 1
		.amdhsa_system_sgpr_workgroup_id_y 1
		.amdhsa_system_sgpr_workgroup_id_z 1
		.amdhsa_system_sgpr_workgroup_info 0
		.amdhsa_system_vgpr_workitem_id 1
		.amdhsa_next_free_vgpr 14
		.amdhsa_next_free_sgpr 32
		.amdhsa_accum_offset 16
		.amdhsa_reserve_vcc 1
		.amdhsa_reserve_flat_scratch 0
		.amdhsa_float_round_mode_32 0
		.amdhsa_float_round_mode_16_64 0
		.amdhsa_float_denorm_mode_32 3
		.amdhsa_float_denorm_mode_16_64 3
		.amdhsa_dx10_clamp 1
		.amdhsa_ieee_mode 1
		.amdhsa_fp16_overflow 0
		.amdhsa_tg_split 0
		.amdhsa_exception_fp_ieee_invalid_op 0
		.amdhsa_exception_fp_denorm_src 0
		.amdhsa_exception_fp_ieee_div_zero 0
		.amdhsa_exception_fp_ieee_overflow 0
		.amdhsa_exception_fp_ieee_underflow 0
		.amdhsa_exception_fp_ieee_inexact 0
		.amdhsa_exception_int_div_zero 0
	.end_amdhsa_kernel
	.section	.text._ZN9rocsolver6v33100L11gemm_kernelIdiPKdPdPKS4_S6_EEvT0_S7_S7_T1_bT2_lS7_S7_lbT3_lS7_S7_lS8_T4_lS7_S7_l,"axG",@progbits,_ZN9rocsolver6v33100L11gemm_kernelIdiPKdPdPKS4_S6_EEvT0_S7_S7_T1_bT2_lS7_S7_lbT3_lS7_S7_lS8_T4_lS7_S7_l,comdat
.Lfunc_end11:
	.size	_ZN9rocsolver6v33100L11gemm_kernelIdiPKdPdPKS4_S6_EEvT0_S7_S7_T1_bT2_lS7_S7_lbT3_lS7_S7_lS8_T4_lS7_S7_l, .Lfunc_end11-_ZN9rocsolver6v33100L11gemm_kernelIdiPKdPdPKS4_S6_EEvT0_S7_S7_T1_bT2_lS7_S7_lbT3_lS7_S7_lS8_T4_lS7_S7_l
                                        ; -- End function
	.section	.AMDGPU.csdata,"",@progbits
; Kernel info:
; codeLenInByte = 540
; NumSgprs: 36
; NumVgprs: 14
; NumAgprs: 0
; TotalNumVgprs: 14
; ScratchSize: 0
; MemoryBound: 0
; FloatMode: 240
; IeeeMode: 1
; LDSByteSize: 0 bytes/workgroup (compile time only)
; SGPRBlocks: 4
; VGPRBlocks: 1
; NumSGPRsForWavesPerEU: 36
; NumVGPRsForWavesPerEU: 14
; AccumOffset: 16
; Occupancy: 8
; WaveLimiterHint : 1
; COMPUTE_PGM_RSRC2:SCRATCH_EN: 0
; COMPUTE_PGM_RSRC2:USER_SGPR: 6
; COMPUTE_PGM_RSRC2:TRAP_HANDLER: 0
; COMPUTE_PGM_RSRC2:TGID_X_EN: 1
; COMPUTE_PGM_RSRC2:TGID_Y_EN: 1
; COMPUTE_PGM_RSRC2:TGID_Z_EN: 1
; COMPUTE_PGM_RSRC2:TIDIG_COMP_CNT: 1
; COMPUTE_PGM_RSRC3_GFX90A:ACCUM_OFFSET: 3
; COMPUTE_PGM_RSRC3_GFX90A:TG_SPLIT: 0
	.section	.text._ZN9rocsolver6v33100L11gemm_kernelIdidPdPKS2_S4_EEvT0_S5_S5_T1_bT2_lS5_S5_lbT3_lS5_S5_lS6_T4_lS5_S5_l,"axG",@progbits,_ZN9rocsolver6v33100L11gemm_kernelIdidPdPKS2_S4_EEvT0_S5_S5_T1_bT2_lS5_S5_lbT3_lS5_S5_lS6_T4_lS5_S5_l,comdat
	.globl	_ZN9rocsolver6v33100L11gemm_kernelIdidPdPKS2_S4_EEvT0_S5_S5_T1_bT2_lS5_S5_lbT3_lS5_S5_lS6_T4_lS5_S5_l ; -- Begin function _ZN9rocsolver6v33100L11gemm_kernelIdidPdPKS2_S4_EEvT0_S5_S5_T1_bT2_lS5_S5_lbT3_lS5_S5_lS6_T4_lS5_S5_l
	.p2align	8
	.type	_ZN9rocsolver6v33100L11gemm_kernelIdidPdPKS2_S4_EEvT0_S5_S5_T1_bT2_lS5_S5_lbT3_lS5_S5_lS6_T4_lS5_S5_l,@function
_ZN9rocsolver6v33100L11gemm_kernelIdidPdPKS2_S4_EEvT0_S5_S5_T1_bT2_lS5_S5_lbT3_lS5_S5_lS6_T4_lS5_S5_l: ; @_ZN9rocsolver6v33100L11gemm_kernelIdidPdPKS2_S4_EEvT0_S5_S5_T1_bT2_lS5_S5_lbT3_lS5_S5_lS6_T4_lS5_S5_l
; %bb.0:
	s_load_dword s0, s[4:5], 0x9c
	s_load_dwordx4 s[20:23], s[4:5], 0x0
	v_and_b32_e32 v1, 0x3ff, v0
	v_bfe_u32 v0, v0, 10, 10
	s_waitcnt lgkmcnt(0)
	s_and_b32 s1, s0, 0xffff
	s_lshr_b32 s0, s0, 16
	s_mul_i32 s7, s7, s0
	s_mul_i32 s6, s6, s1
	v_add_u32_e32 v6, s6, v1
	v_add_u32_e32 v7, s7, v0
	v_cmp_gt_i32_e32 vcc, s20, v6
	v_cmp_gt_i32_e64 s[0:1], s21, v7
	s_and_b64 s[0:1], vcc, s[0:1]
	s_and_saveexec_b64 s[2:3], s[0:1]
	s_cbranch_execz .LBB12_6
; %bb.1:
	s_load_dwordx4 s[0:3], s[4:5], 0x68
	s_load_dwordx2 s[6:7], s[4:5], 0x78
	s_ashr_i32 s9, s8, 31
	s_lshl_b64 s[10:11], s[8:9], 3
	s_waitcnt lgkmcnt(0)
	s_add_u32 s2, s2, s10
	s_addc_u32 s3, s3, s11
	s_load_dwordx2 s[2:3], s[2:3], 0x0
	s_cmp_lt_i32 s22, 1
	s_cbranch_scc1 .LBB12_4
; %bb.2:
	s_load_dwordx4 s[24:27], s[4:5], 0x48
	s_load_dwordx8 s[12:19], s[4:5], 0x20
	s_load_dwordx2 s[20:21], s[4:5], 0x58
	s_waitcnt lgkmcnt(0)
	s_add_u32 s10, s24, s10
	s_addc_u32 s11, s25, s11
	s_load_dwordx2 s[10:11], s[10:11], 0x0
	s_lshl_b64 s[24:25], s[26:27], 3
	v_mul_lo_u32 v0, v6, s16
	v_mul_lo_u32 v2, v7, s21
	s_mul_i32 s9, s18, s9
	s_waitcnt lgkmcnt(0)
	s_add_u32 s10, s10, s24
	s_mul_hi_u32 s16, s18, s8
	v_ashrrev_i32_e32 v3, 31, v2
	s_addc_u32 s11, s11, s25
	s_add_i32 s9, s16, s9
	s_mul_i32 s16, s19, s8
	v_lshlrev_b64 v[2:3], 3, v[2:3]
	s_ashr_i32 s21, s20, 31
	s_add_i32 s9, s9, s16
	s_mul_i32 s8, s18, s8
	v_mov_b32_e32 v1, s11
	v_add_co_u32_e32 v2, vcc, s10, v2
	s_lshl_b64 s[10:11], s[20:21], 3
	s_lshl_b64 s[8:9], s[8:9], 3
	;; [unrolled: 1-line block ×3, first 2 shown]
	s_add_u32 s8, s8, s14
	s_addc_u32 s9, s9, s15
	v_addc_co_u32_e32 v3, vcc, v1, v3, vcc
	v_ashrrev_i32_e32 v1, 31, v0
	s_add_u32 s8, s12, s8
	v_lshlrev_b64 v[0:1], 3, v[0:1]
	s_addc_u32 s9, s13, s9
	v_mov_b32_e32 v5, s9
	v_add_co_u32_e32 v4, vcc, s8, v0
	s_ashr_i32 s9, s17, 31
	s_mov_b32 s8, s17
	s_lshl_b64 s[8:9], s[8:9], 3
	v_addc_co_u32_e32 v5, vcc, v5, v1, vcc
	v_pk_mov_b32 v[0:1], 0, 0
	v_mov_b32_e32 v8, s11
	v_mov_b32_e32 v9, s9
.LBB12_3:                               ; =>This Inner Loop Header: Depth=1
	global_load_dwordx2 v[10:11], v[4:5], off
	global_load_dwordx2 v[12:13], v[2:3], off
	v_add_co_u32_e32 v2, vcc, s10, v2
	v_addc_co_u32_e32 v3, vcc, v3, v8, vcc
	v_add_co_u32_e32 v4, vcc, s8, v4
	s_add_i32 s22, s22, -1
	v_addc_co_u32_e32 v5, vcc, v5, v9, vcc
	s_cmp_eq_u32 s22, 0
	s_waitcnt vmcnt(0)
	v_fmac_f64_e32 v[0:1], v[10:11], v[12:13]
	s_cbranch_scc0 .LBB12_3
	s_branch .LBB12_5
.LBB12_4:
	v_pk_mov_b32 v[0:1], 0, 0
.LBB12_5:
	s_load_dwordx2 s[8:9], s[4:5], 0x80
	s_lshl_b64 s[6:7], s[6:7], 3
	s_waitcnt lgkmcnt(0)
	s_add_u32 s6, s2, s6
	s_addc_u32 s7, s3, s7
	v_mov_b32_e32 v4, s7
	v_mul_lo_u32 v2, v6, s8
	v_mad_u64_u32 v[2:3], s[2:3], v7, s9, v[2:3]
	v_ashrrev_i32_e32 v3, 31, v2
	v_lshlrev_b64 v[2:3], 3, v[2:3]
	v_add_co_u32_e32 v2, vcc, s6, v2
	v_addc_co_u32_e32 v3, vcc, v4, v3, vcc
	global_load_dwordx2 v[4:5], v[2:3], off
	s_load_dwordx2 s[2:3], s[4:5], 0x10
	s_waitcnt vmcnt(0)
	v_mul_f64 v[4:5], v[4:5], s[0:1]
	s_waitcnt lgkmcnt(0)
	v_fmac_f64_e32 v[4:5], s[2:3], v[0:1]
	global_store_dwordx2 v[2:3], v[4:5], off
.LBB12_6:
	s_endpgm
	.section	.rodata,"a",@progbits
	.p2align	6, 0x0
	.amdhsa_kernel _ZN9rocsolver6v33100L11gemm_kernelIdidPdPKS2_S4_EEvT0_S5_S5_T1_bT2_lS5_S5_lbT3_lS5_S5_lS6_T4_lS5_S5_l
		.amdhsa_group_segment_fixed_size 0
		.amdhsa_private_segment_fixed_size 0
		.amdhsa_kernarg_size 400
		.amdhsa_user_sgpr_count 6
		.amdhsa_user_sgpr_private_segment_buffer 1
		.amdhsa_user_sgpr_dispatch_ptr 0
		.amdhsa_user_sgpr_queue_ptr 0
		.amdhsa_user_sgpr_kernarg_segment_ptr 1
		.amdhsa_user_sgpr_dispatch_id 0
		.amdhsa_user_sgpr_flat_scratch_init 0
		.amdhsa_user_sgpr_kernarg_preload_length 0
		.amdhsa_user_sgpr_kernarg_preload_offset 0
		.amdhsa_user_sgpr_private_segment_size 0
		.amdhsa_uses_dynamic_stack 0
		.amdhsa_system_sgpr_private_segment_wavefront_offset 0
		.amdhsa_system_sgpr_workgroup_id_x 1
		.amdhsa_system_sgpr_workgroup_id_y 1
		.amdhsa_system_sgpr_workgroup_id_z 1
		.amdhsa_system_sgpr_workgroup_info 0
		.amdhsa_system_vgpr_workitem_id 1
		.amdhsa_next_free_vgpr 14
		.amdhsa_next_free_sgpr 28
		.amdhsa_accum_offset 16
		.amdhsa_reserve_vcc 1
		.amdhsa_reserve_flat_scratch 0
		.amdhsa_float_round_mode_32 0
		.amdhsa_float_round_mode_16_64 0
		.amdhsa_float_denorm_mode_32 3
		.amdhsa_float_denorm_mode_16_64 3
		.amdhsa_dx10_clamp 1
		.amdhsa_ieee_mode 1
		.amdhsa_fp16_overflow 0
		.amdhsa_tg_split 0
		.amdhsa_exception_fp_ieee_invalid_op 0
		.amdhsa_exception_fp_denorm_src 0
		.amdhsa_exception_fp_ieee_div_zero 0
		.amdhsa_exception_fp_ieee_overflow 0
		.amdhsa_exception_fp_ieee_underflow 0
		.amdhsa_exception_fp_ieee_inexact 0
		.amdhsa_exception_int_div_zero 0
	.end_amdhsa_kernel
	.section	.text._ZN9rocsolver6v33100L11gemm_kernelIdidPdPKS2_S4_EEvT0_S5_S5_T1_bT2_lS5_S5_lbT3_lS5_S5_lS6_T4_lS5_S5_l,"axG",@progbits,_ZN9rocsolver6v33100L11gemm_kernelIdidPdPKS2_S4_EEvT0_S5_S5_T1_bT2_lS5_S5_lbT3_lS5_S5_lS6_T4_lS5_S5_l,comdat
.Lfunc_end12:
	.size	_ZN9rocsolver6v33100L11gemm_kernelIdidPdPKS2_S4_EEvT0_S5_S5_T1_bT2_lS5_S5_lbT3_lS5_S5_lS6_T4_lS5_S5_l, .Lfunc_end12-_ZN9rocsolver6v33100L11gemm_kernelIdidPdPKS2_S4_EEvT0_S5_S5_T1_bT2_lS5_S5_lbT3_lS5_S5_lS6_T4_lS5_S5_l
                                        ; -- End function
	.section	.AMDGPU.csdata,"",@progbits
; Kernel info:
; codeLenInByte = 524
; NumSgprs: 32
; NumVgprs: 14
; NumAgprs: 0
; TotalNumVgprs: 14
; ScratchSize: 0
; MemoryBound: 0
; FloatMode: 240
; IeeeMode: 1
; LDSByteSize: 0 bytes/workgroup (compile time only)
; SGPRBlocks: 3
; VGPRBlocks: 1
; NumSGPRsForWavesPerEU: 32
; NumVGPRsForWavesPerEU: 14
; AccumOffset: 16
; Occupancy: 8
; WaveLimiterHint : 1
; COMPUTE_PGM_RSRC2:SCRATCH_EN: 0
; COMPUTE_PGM_RSRC2:USER_SGPR: 6
; COMPUTE_PGM_RSRC2:TRAP_HANDLER: 0
; COMPUTE_PGM_RSRC2:TGID_X_EN: 1
; COMPUTE_PGM_RSRC2:TGID_Y_EN: 1
; COMPUTE_PGM_RSRC2:TGID_Z_EN: 1
; COMPUTE_PGM_RSRC2:TIDIG_COMP_CNT: 1
; COMPUTE_PGM_RSRC3_GFX90A:ACCUM_OFFSET: 3
; COMPUTE_PGM_RSRC3_GFX90A:TG_SPLIT: 0
	.section	.text._ZN9rocsolver6v33100L16mfma_gemm_kernelIdiPKdPKPdS4_S6_EEv18rocblas_operation_S7_T0_S8_S8_T1_T2_lS8_S8_lT3_lS8_S8_lS9_T4_lS8_S8_l,"axG",@progbits,_ZN9rocsolver6v33100L16mfma_gemm_kernelIdiPKdPKPdS4_S6_EEv18rocblas_operation_S7_T0_S8_S8_T1_T2_lS8_S8_lT3_lS8_S8_lS9_T4_lS8_S8_l,comdat
	.globl	_ZN9rocsolver6v33100L16mfma_gemm_kernelIdiPKdPKPdS4_S6_EEv18rocblas_operation_S7_T0_S8_S8_T1_T2_lS8_S8_lT3_lS8_S8_lS9_T4_lS8_S8_l ; -- Begin function _ZN9rocsolver6v33100L16mfma_gemm_kernelIdiPKdPKPdS4_S6_EEv18rocblas_operation_S7_T0_S8_S8_T1_T2_lS8_S8_lT3_lS8_S8_lS9_T4_lS8_S8_l
	.p2align	8
	.type	_ZN9rocsolver6v33100L16mfma_gemm_kernelIdiPKdPKPdS4_S6_EEv18rocblas_operation_S7_T0_S8_S8_T1_T2_lS8_S8_lT3_lS8_S8_lS9_T4_lS8_S8_l,@function
_ZN9rocsolver6v33100L16mfma_gemm_kernelIdiPKdPKPdS4_S6_EEv18rocblas_operation_S7_T0_S8_S8_T1_T2_lS8_S8_lT3_lS8_S8_lS9_T4_lS8_S8_l: ; @_ZN9rocsolver6v33100L16mfma_gemm_kernelIdiPKdPKPdS4_S6_EEv18rocblas_operation_S7_T0_S8_S8_T1_T2_lS8_S8_lT3_lS8_S8_lS9_T4_lS8_S8_l
; %bb.0:
	s_load_dword s0, s[4:5], 0x94
	s_load_dwordx4 s[20:23], s[4:5], 0x0
	v_and_b32_e32 v22, 0x3ff, v0
	v_bfe_u32 v0, v0, 10, 10
	v_lshrrev_b32_e32 v1, 6, v22
	s_waitcnt lgkmcnt(0)
	s_lshr_b32 s1, s0, 16
	s_bfe_u32 s0, s0, 0xa0006
	s_mul_i32 s7, s7, s1
	s_mul_i32 s6, s6, s0
	v_add_u32_e32 v0, s7, v0
	v_add_lshl_u32 v23, s6, v1, 4
	v_lshlrev_b32_e32 v24, 4, v0
	v_cmp_gt_i32_e32 vcc, s22, v23
	v_cmp_gt_i32_e64 s[0:1], s23, v24
	s_and_b64 s[0:1], vcc, s[0:1]
	s_and_saveexec_b64 s[2:3], s[0:1]
	s_cbranch_execz .LBB13_36
; %bb.1:
	s_ashr_i32 s6, s22, 31
	s_lshr_b32 s6, s6, 28
	s_add_i32 s6, s22, s6
	s_and_b32 s6, s6, -16
	s_sub_i32 s6, s22, s6
	v_mov_b32_e32 v1, s6
	s_ashr_i32 s6, s23, 31
	s_load_dword s28, s[4:5], 0x10
	s_load_dwordx4 s[0:3], s[4:5], 0x18
	s_load_dwordx8 s[12:19], s[4:5], 0x58
	s_lshr_b32 s6, s6, 28
	s_add_i32 s6, s23, s6
	v_add_u32_e32 v0, 16, v23
	s_and_b32 s6, s6, -16
	v_cmp_lt_i32_e32 vcc, s22, v0
	s_sub_i32 s6, s23, s6
	s_ashr_i32 s9, s8, 31
	v_cndmask_b32_e32 v20, 16, v1, vcc
	v_add_u32_e32 v0, 16, v24
	v_mov_b32_e32 v1, s6
	s_lshl_b64 s[6:7], s[8:9], 3
	v_cmp_lt_i32_e32 vcc, s23, v0
	s_waitcnt lgkmcnt(0)
	s_load_dwordx2 s[10:11], s[0:1], 0x0
	s_load_dwordx2 s[22:23], s[14:15], 0x0
	s_add_u32 s0, s16, s6
	s_addc_u32 s1, s17, s7
	s_load_dwordx2 s[14:15], s[0:1], 0x0
	v_cndmask_b32_e32 v25, 16, v1, vcc
	v_bfe_u32 v26, v22, 2, 4
	v_pk_mov_b32 v[6:7], 0, 0
	v_and_b32_e32 v21, 3, v22
	s_cmp_lt_i32 s28, 1
	v_cmp_lt_i32_e64 s[0:1], v26, v25
	v_mbcnt_lo_u32_b32 v27, -1, 0
	v_pk_mov_b32 v[4:5], v[6:7], v[6:7] op_sel:[0,1]
	v_pk_mov_b32 v[2:3], v[6:7], v[6:7] op_sel:[0,1]
	;; [unrolled: 1-line block ×3, first 2 shown]
	s_cbranch_scc1 .LBB13_28
; %bb.2:
	s_add_u32 s2, s2, s6
	s_addc_u32 s3, s3, s7
	s_load_dwordx4 s[24:27], s[4:5], 0x28
	s_load_dwordx2 s[6:7], s[2:3], 0x0
	s_load_dwordx4 s[36:39], s[4:5], 0x40
	s_load_dwordx2 s[30:31], s[4:5], 0x50
	v_and_b32_e32 v2, 63, v22
	v_lshrrev_b32_e32 v32, 4, v2
	s_waitcnt lgkmcnt(0)
	s_lshl_b64 s[2:3], s[24:25], 3
	s_add_u32 s6, s6, s2
	s_addc_u32 s7, s7, s3
	s_mul_i32 s2, s8, s13
	s_mul_hi_u32 s3, s8, s12
	s_add_i32 s2, s3, s2
	s_mul_i32 s3, s9, s12
	s_add_i32 s3, s2, s3
	s_mul_i32 s2, s8, s12
	s_lshl_b64 s[2:3], s[2:3], 3
	s_add_u32 s8, s36, s2
	s_addc_u32 s9, s37, s3
	s_lshl_b64 s[2:3], s[38:39], 3
	s_add_u32 s2, s8, s2
	s_addc_u32 s3, s9, s3
	s_cmpk_lg_i32 s20, 0x6f
	s_cselect_b64 s[12:13], -1, 0
	s_cmpk_eq_i32 s20, 0x6f
	s_cselect_b32 s8, s26, s27
	v_mul_lo_u32 v0, v23, s8
	v_ashrrev_i32_e32 v1, 31, v0
	s_cmpk_lg_i32 s21, 0x6f
	v_lshlrev_b64 v[0:1], 3, v[0:1]
	s_cselect_b64 s[16:17], -1, 0
	s_cmpk_eq_i32 s21, 0x6f
	v_add_co_u32_e32 v28, vcc, s6, v0
	s_cselect_b32 s6, s31, s30
	v_mov_b32_e32 v3, s7
	v_mul_lo_u32 v0, v24, s6
	v_addc_co_u32_e32 v29, vcc, v3, v1, vcc
	v_ashrrev_i32_e32 v1, 31, v0
	v_lshlrev_b64 v[0:1], 3, v[0:1]
	v_mov_b32_e32 v3, s3
	v_add_co_u32_e32 v30, vcc, s2, v0
	v_addc_co_u32_e32 v31, vcc, v3, v1, vcc
	v_and_b32_e32 v1, 15, v22
	v_mul_lo_u32 v0, v1, s26
	v_lshl_or_b32 v3, v1, 2, v32
	v_mul_lo_u32 v2, v1, s30
	v_mad_u64_u32 v[8:9], s[20:21], s27, v32, v[0:1]
	v_mul_lo_u32 v0, s26, v21
	v_mad_u64_u32 v[10:11], s[20:21], v26, s27, v[0:1]
	;; [unrolled: 2-line block ×3, first 2 shown]
	v_mbcnt_hi_u32_b32 v2, -1, v27
	v_cmp_lt_i32_e64 s[6:7], v1, v20
	v_cmp_lt_i32_e64 s[8:9], v1, v25
	v_mad_u64_u32 v[12:13], s[20:21], v26, s31, v[0:1]
	v_pk_mov_b32 v[0:1], 0, 0
	v_and_or_b32 v2, v2, 64, v3
	v_cmp_lt_i32_e64 s[2:3], v26, v20
	s_lshl_b32 s29, s27, 2
	s_lshl_b32 s26, s26, 2
	;; [unrolled: 1-line block ×4, first 2 shown]
	s_mov_b32 s31, 0
	v_lshlrev_b32_e32 v33, 2, v2
	v_pk_mov_b32 v[2:3], v[0:1], v[0:1] op_sel:[0,1]
	v_pk_mov_b32 v[4:5], v[0:1], v[0:1] op_sel:[0,1]
	;; [unrolled: 1-line block ×3, first 2 shown]
	s_branch .LBB13_6
.LBB13_3:                               ;   in Loop: Header=BB13_6 Depth=1
	s_or_b64 exec, exec, s[24:25]
.LBB13_4:                               ;   in Loop: Header=BB13_6 Depth=1
	s_or_b64 exec, exec, s[20:21]
	s_waitcnt vmcnt(0)
	ds_bpermute_b32 v18, v33, v18
	ds_bpermute_b32 v19, v33, v19
.LBB13_5:                               ;   in Loop: Header=BB13_6 Depth=1
	s_waitcnt vmcnt(0) lgkmcnt(0)
	v_mfma_f64_16x16x4f64 v[0:7], v[16:17], v[18:19], v[0:7]
	s_add_i32 s31, s31, 4
	s_cmp_ge_i32 s31, s28
	v_add_u32_e32 v8, s29, v8
	v_add_u32_e32 v10, s26, v10
	;; [unrolled: 1-line block ×4, first 2 shown]
	s_cbranch_scc1 .LBB13_28
.LBB13_6:                               ; =>This Inner Loop Header: Depth=1
	s_and_b64 vcc, exec, s[12:13]
	s_cbranch_vccz .LBB13_18
; %bb.7:                                ;   in Loop: Header=BB13_6 Depth=1
	v_pk_mov_b32 v[16:17], 0, 0
	s_and_saveexec_b64 s[20:21], s[2:3]
	s_cbranch_execz .LBB13_11
; %bb.8:                                ;   in Loop: Header=BB13_6 Depth=1
	v_add_u32_e32 v9, s31, v21
	v_cmp_gt_i32_e32 vcc, s28, v9
	v_pk_mov_b32 v[16:17], 0, 0
	s_and_saveexec_b64 s[24:25], vcc
	s_cbranch_execz .LBB13_10
; %bb.9:                                ;   in Loop: Header=BB13_6 Depth=1
	v_ashrrev_i32_e32 v11, 31, v10
	v_lshlrev_b64 v[16:17], 3, v[10:11]
	v_add_co_u32_e32 v16, vcc, v28, v16
	v_addc_co_u32_e32 v17, vcc, v29, v17, vcc
	global_load_dwordx2 v[16:17], v[16:17], off
.LBB13_10:                              ;   in Loop: Header=BB13_6 Depth=1
	s_or_b64 exec, exec, s[24:25]
.LBB13_11:                              ;   in Loop: Header=BB13_6 Depth=1
	s_or_b64 exec, exec, s[20:21]
	s_waitcnt vmcnt(0)
	ds_bpermute_b32 v16, v33, v16
	ds_bpermute_b32 v17, v33, v17
.LBB13_12:                              ;   in Loop: Header=BB13_6 Depth=1
	s_and_b64 vcc, exec, s[16:17]
	s_cbranch_vccz .LBB13_24
.LBB13_13:                              ;   in Loop: Header=BB13_6 Depth=1
	v_pk_mov_b32 v[18:19], 0, 0
	s_and_saveexec_b64 s[20:21], s[8:9]
	s_cbranch_execz .LBB13_17
; %bb.14:                               ;   in Loop: Header=BB13_6 Depth=1
	v_add_u32_e32 v9, s31, v32
	v_cmp_gt_i32_e32 vcc, s28, v9
	v_pk_mov_b32 v[18:19], 0, 0
	s_and_saveexec_b64 s[24:25], vcc
	s_cbranch_execz .LBB13_16
; %bb.15:                               ;   in Loop: Header=BB13_6 Depth=1
	v_ashrrev_i32_e32 v15, 31, v14
	v_lshlrev_b64 v[18:19], 3, v[14:15]
	v_add_co_u32_e32 v18, vcc, v30, v18
	v_addc_co_u32_e32 v19, vcc, v31, v19, vcc
	global_load_dwordx2 v[18:19], v[18:19], off
.LBB13_16:                              ;   in Loop: Header=BB13_6 Depth=1
	s_or_b64 exec, exec, s[24:25]
.LBB13_17:                              ;   in Loop: Header=BB13_6 Depth=1
	s_or_b64 exec, exec, s[20:21]
	s_cbranch_execnz .LBB13_5
	s_branch .LBB13_25
.LBB13_18:                              ;   in Loop: Header=BB13_6 Depth=1
                                        ; implicit-def: $vgpr16_vgpr17
	s_cbranch_execz .LBB13_12
; %bb.19:                               ;   in Loop: Header=BB13_6 Depth=1
	s_waitcnt lgkmcnt(0)
	v_pk_mov_b32 v[16:17], 0, 0
	s_and_saveexec_b64 s[20:21], s[6:7]
	s_cbranch_execz .LBB13_23
; %bb.20:                               ;   in Loop: Header=BB13_6 Depth=1
	v_add_u32_e32 v9, s31, v32
	v_cmp_gt_i32_e32 vcc, s28, v9
	v_pk_mov_b32 v[16:17], 0, 0
	s_and_saveexec_b64 s[24:25], vcc
	s_cbranch_execz .LBB13_22
; %bb.21:                               ;   in Loop: Header=BB13_6 Depth=1
	v_ashrrev_i32_e32 v9, 31, v8
	v_lshlrev_b64 v[16:17], 3, v[8:9]
	v_add_co_u32_e32 v16, vcc, v28, v16
	v_addc_co_u32_e32 v17, vcc, v29, v17, vcc
	global_load_dwordx2 v[16:17], v[16:17], off
.LBB13_22:                              ;   in Loop: Header=BB13_6 Depth=1
	s_or_b64 exec, exec, s[24:25]
.LBB13_23:                              ;   in Loop: Header=BB13_6 Depth=1
	s_or_b64 exec, exec, s[20:21]
	s_and_b64 vcc, exec, s[16:17]
	s_cbranch_vccnz .LBB13_13
.LBB13_24:                              ;   in Loop: Header=BB13_6 Depth=1
                                        ; implicit-def: $vgpr18_vgpr19
.LBB13_25:                              ;   in Loop: Header=BB13_6 Depth=1
	s_waitcnt vmcnt(0)
	v_pk_mov_b32 v[18:19], 0, 0
	s_and_saveexec_b64 s[20:21], s[0:1]
	s_cbranch_execz .LBB13_4
; %bb.26:                               ;   in Loop: Header=BB13_6 Depth=1
	v_add_u32_e32 v9, s31, v21
	v_cmp_gt_i32_e32 vcc, s28, v9
	v_pk_mov_b32 v[18:19], 0, 0
	s_and_saveexec_b64 s[24:25], vcc
	s_cbranch_execz .LBB13_3
; %bb.27:                               ;   in Loop: Header=BB13_6 Depth=1
	v_ashrrev_i32_e32 v13, 31, v12
	v_lshlrev_b64 v[18:19], 3, v[12:13]
	v_add_co_u32_e32 v18, vcc, v30, v18
	v_addc_co_u32_e32 v19, vcc, v31, v19, vcc
	global_load_dwordx2 v[18:19], v[18:19], off
	s_branch .LBB13_3
.LBB13_28:
	s_load_dwordx2 s[2:3], s[4:5], 0x78
	s_lshl_b64 s[0:1], s[18:19], 3
	s_waitcnt lgkmcnt(0)
	s_add_u32 s4, s14, s0
	s_addc_u32 s5, s15, s1
	v_mov_b32_e32 v11, s5
	v_mul_lo_u32 v8, v23, s2
	v_mad_u64_u32 v[8:9], s[0:1], v24, s3, v[8:9]
	v_ashrrev_i32_e32 v9, 31, v8
	v_lshlrev_b64 v[8:9], 3, v[8:9]
	v_add_co_u32_e32 v10, vcc, s4, v8
	v_addc_co_u32_e32 v11, vcc, v11, v9, vcc
	v_lshlrev_b32_e32 v8, 4, v22
	v_mbcnt_hi_u32_b32 v9, -1, v27
	v_and_b32_e32 v8, 48, v8
	v_and_b32_e32 v9, 64, v9
	v_or3_b32 v8, v8, v9, v26
	v_lshlrev_b32_e32 v12, 2, v8
	ds_bpermute_b32 v8, v12, v0
	ds_bpermute_b32 v9, v12, v1
	v_cmp_lt_i32_e32 vcc, v26, v25
	v_cmp_lt_i32_e64 s[0:1], v21, v20
	v_mul_lo_u32 v0, v26, s3
	s_and_b64 s[0:1], vcc, s[0:1]
	s_and_saveexec_b64 s[4:5], s[0:1]
	s_cbranch_execz .LBB13_30
; %bb.29:
	v_mad_u64_u32 v[14:15], s[0:1], v21, s2, v[0:1]
	v_ashrrev_i32_e32 v15, 31, v14
	v_lshlrev_b64 v[14:15], 3, v[14:15]
	v_add_co_u32_e64 v14, s[0:1], v10, v14
	v_addc_co_u32_e64 v15, s[0:1], v11, v15, s[0:1]
	global_load_dwordx2 v[16:17], v[14:15], off
	s_waitcnt vmcnt(0)
	v_mul_f64 v[16:17], s[22:23], v[16:17]
	s_waitcnt lgkmcnt(0)
	v_fmac_f64_e32 v[16:17], s[10:11], v[8:9]
	global_store_dwordx2 v[14:15], v[16:17], off
.LBB13_30:
	s_or_b64 exec, exec, s[4:5]
	ds_bpermute_b32 v2, v12, v2
	ds_bpermute_b32 v3, v12, v3
	v_or_b32_e32 v1, 4, v21
	v_cmp_lt_i32_e64 s[0:1], v1, v20
	s_and_b64 s[0:1], vcc, s[0:1]
	s_and_saveexec_b64 s[4:5], s[0:1]
	s_cbranch_execz .LBB13_32
; %bb.31:
	s_waitcnt lgkmcnt(2)
	v_mad_u64_u32 v[8:9], s[0:1], v1, s2, v[0:1]
	v_ashrrev_i32_e32 v9, 31, v8
	v_lshlrev_b64 v[8:9], 3, v[8:9]
	v_add_co_u32_e64 v8, s[0:1], v10, v8
	v_addc_co_u32_e64 v9, s[0:1], v11, v9, s[0:1]
	global_load_dwordx2 v[14:15], v[8:9], off
	s_waitcnt vmcnt(0)
	v_mul_f64 v[14:15], s[22:23], v[14:15]
	s_waitcnt lgkmcnt(0)
	v_fmac_f64_e32 v[14:15], s[10:11], v[2:3]
	global_store_dwordx2 v[8:9], v[14:15], off
.LBB13_32:
	s_or_b64 exec, exec, s[4:5]
	s_waitcnt lgkmcnt(1)
	ds_bpermute_b32 v2, v12, v4
	s_waitcnt lgkmcnt(1)
	ds_bpermute_b32 v3, v12, v5
	v_or_b32_e32 v1, 8, v21
	v_cmp_lt_i32_e64 s[0:1], v1, v20
	s_and_b64 s[0:1], vcc, s[0:1]
	s_and_saveexec_b64 s[4:5], s[0:1]
	s_cbranch_execz .LBB13_34
; %bb.33:
	v_mad_u64_u32 v[4:5], s[0:1], v1, s2, v[0:1]
	v_ashrrev_i32_e32 v5, 31, v4
	v_lshlrev_b64 v[4:5], 3, v[4:5]
	v_add_co_u32_e64 v4, s[0:1], v10, v4
	v_addc_co_u32_e64 v5, s[0:1], v11, v5, s[0:1]
	global_load_dwordx2 v[8:9], v[4:5], off
	s_waitcnt vmcnt(0)
	v_mul_f64 v[8:9], s[22:23], v[8:9]
	s_waitcnt lgkmcnt(0)
	v_fmac_f64_e32 v[8:9], s[10:11], v[2:3]
	global_store_dwordx2 v[4:5], v[8:9], off
.LBB13_34:
	s_or_b64 exec, exec, s[4:5]
	s_waitcnt lgkmcnt(1)
	ds_bpermute_b32 v2, v12, v6
	s_waitcnt lgkmcnt(1)
	ds_bpermute_b32 v3, v12, v7
	v_or_b32_e32 v1, 12, v21
	v_cmp_lt_i32_e64 s[0:1], v1, v20
	s_and_b64 s[0:1], vcc, s[0:1]
	s_and_b64 exec, exec, s[0:1]
	s_cbranch_execz .LBB13_36
; %bb.35:
	v_mad_u64_u32 v[0:1], s[0:1], v1, s2, v[0:1]
	v_ashrrev_i32_e32 v1, 31, v0
	v_lshlrev_b64 v[0:1], 3, v[0:1]
	v_add_co_u32_e32 v0, vcc, v10, v0
	v_addc_co_u32_e32 v1, vcc, v11, v1, vcc
	global_load_dwordx2 v[4:5], v[0:1], off
	s_waitcnt vmcnt(0)
	v_mul_f64 v[4:5], s[22:23], v[4:5]
	s_waitcnt lgkmcnt(0)
	v_fmac_f64_e32 v[4:5], s[10:11], v[2:3]
	global_store_dwordx2 v[0:1], v[4:5], off
.LBB13_36:
	s_endpgm
	.section	.rodata,"a",@progbits
	.p2align	6, 0x0
	.amdhsa_kernel _ZN9rocsolver6v33100L16mfma_gemm_kernelIdiPKdPKPdS4_S6_EEv18rocblas_operation_S7_T0_S8_S8_T1_T2_lS8_S8_lT3_lS8_S8_lS9_T4_lS8_S8_l
		.amdhsa_group_segment_fixed_size 0
		.amdhsa_private_segment_fixed_size 0
		.amdhsa_kernarg_size 392
		.amdhsa_user_sgpr_count 6
		.amdhsa_user_sgpr_private_segment_buffer 1
		.amdhsa_user_sgpr_dispatch_ptr 0
		.amdhsa_user_sgpr_queue_ptr 0
		.amdhsa_user_sgpr_kernarg_segment_ptr 1
		.amdhsa_user_sgpr_dispatch_id 0
		.amdhsa_user_sgpr_flat_scratch_init 0
		.amdhsa_user_sgpr_kernarg_preload_length 0
		.amdhsa_user_sgpr_kernarg_preload_offset 0
		.amdhsa_user_sgpr_private_segment_size 0
		.amdhsa_uses_dynamic_stack 0
		.amdhsa_system_sgpr_private_segment_wavefront_offset 0
		.amdhsa_system_sgpr_workgroup_id_x 1
		.amdhsa_system_sgpr_workgroup_id_y 1
		.amdhsa_system_sgpr_workgroup_id_z 1
		.amdhsa_system_sgpr_workgroup_info 0
		.amdhsa_system_vgpr_workitem_id 1
		.amdhsa_next_free_vgpr 34
		.amdhsa_next_free_sgpr 40
		.amdhsa_accum_offset 36
		.amdhsa_reserve_vcc 1
		.amdhsa_reserve_flat_scratch 0
		.amdhsa_float_round_mode_32 0
		.amdhsa_float_round_mode_16_64 0
		.amdhsa_float_denorm_mode_32 3
		.amdhsa_float_denorm_mode_16_64 3
		.amdhsa_dx10_clamp 1
		.amdhsa_ieee_mode 1
		.amdhsa_fp16_overflow 0
		.amdhsa_tg_split 0
		.amdhsa_exception_fp_ieee_invalid_op 0
		.amdhsa_exception_fp_denorm_src 0
		.amdhsa_exception_fp_ieee_div_zero 0
		.amdhsa_exception_fp_ieee_overflow 0
		.amdhsa_exception_fp_ieee_underflow 0
		.amdhsa_exception_fp_ieee_inexact 0
		.amdhsa_exception_int_div_zero 0
	.end_amdhsa_kernel
	.section	.text._ZN9rocsolver6v33100L16mfma_gemm_kernelIdiPKdPKPdS4_S6_EEv18rocblas_operation_S7_T0_S8_S8_T1_T2_lS8_S8_lT3_lS8_S8_lS9_T4_lS8_S8_l,"axG",@progbits,_ZN9rocsolver6v33100L16mfma_gemm_kernelIdiPKdPKPdS4_S6_EEv18rocblas_operation_S7_T0_S8_S8_T1_T2_lS8_S8_lT3_lS8_S8_lS9_T4_lS8_S8_l,comdat
.Lfunc_end13:
	.size	_ZN9rocsolver6v33100L16mfma_gemm_kernelIdiPKdPKPdS4_S6_EEv18rocblas_operation_S7_T0_S8_S8_T1_T2_lS8_S8_lT3_lS8_S8_lS9_T4_lS8_S8_l, .Lfunc_end13-_ZN9rocsolver6v33100L16mfma_gemm_kernelIdiPKdPKPdS4_S6_EEv18rocblas_operation_S7_T0_S8_S8_T1_T2_lS8_S8_lT3_lS8_S8_lS9_T4_lS8_S8_l
                                        ; -- End function
	.section	.AMDGPU.csdata,"",@progbits
; Kernel info:
; codeLenInByte = 1704
; NumSgprs: 44
; NumVgprs: 34
; NumAgprs: 0
; TotalNumVgprs: 34
; ScratchSize: 0
; MemoryBound: 0
; FloatMode: 240
; IeeeMode: 1
; LDSByteSize: 0 bytes/workgroup (compile time only)
; SGPRBlocks: 5
; VGPRBlocks: 4
; NumSGPRsForWavesPerEU: 44
; NumVGPRsForWavesPerEU: 34
; AccumOffset: 36
; Occupancy: 8
; WaveLimiterHint : 1
; COMPUTE_PGM_RSRC2:SCRATCH_EN: 0
; COMPUTE_PGM_RSRC2:USER_SGPR: 6
; COMPUTE_PGM_RSRC2:TRAP_HANDLER: 0
; COMPUTE_PGM_RSRC2:TGID_X_EN: 1
; COMPUTE_PGM_RSRC2:TGID_Y_EN: 1
; COMPUTE_PGM_RSRC2:TGID_Z_EN: 1
; COMPUTE_PGM_RSRC2:TIDIG_COMP_CNT: 1
; COMPUTE_PGM_RSRC3_GFX90A:ACCUM_OFFSET: 8
; COMPUTE_PGM_RSRC3_GFX90A:TG_SPLIT: 0
	.section	.text._ZN9rocsolver6v33100L16mfma_gemm_kernelIdidPKPdS2_S4_EEv18rocblas_operation_S5_T0_S6_S6_T1_T2_lS6_S6_lT3_lS6_S6_lS7_T4_lS6_S6_l,"axG",@progbits,_ZN9rocsolver6v33100L16mfma_gemm_kernelIdidPKPdS2_S4_EEv18rocblas_operation_S5_T0_S6_S6_T1_T2_lS6_S6_lT3_lS6_S6_lS7_T4_lS6_S6_l,comdat
	.globl	_ZN9rocsolver6v33100L16mfma_gemm_kernelIdidPKPdS2_S4_EEv18rocblas_operation_S5_T0_S6_S6_T1_T2_lS6_S6_lT3_lS6_S6_lS7_T4_lS6_S6_l ; -- Begin function _ZN9rocsolver6v33100L16mfma_gemm_kernelIdidPKPdS2_S4_EEv18rocblas_operation_S5_T0_S6_S6_T1_T2_lS6_S6_lT3_lS6_S6_lS7_T4_lS6_S6_l
	.p2align	8
	.type	_ZN9rocsolver6v33100L16mfma_gemm_kernelIdidPKPdS2_S4_EEv18rocblas_operation_S5_T0_S6_S6_T1_T2_lS6_S6_lT3_lS6_S6_lS7_T4_lS6_S6_l,@function
_ZN9rocsolver6v33100L16mfma_gemm_kernelIdidPKPdS2_S4_EEv18rocblas_operation_S5_T0_S6_S6_T1_T2_lS6_S6_lT3_lS6_S6_lS7_T4_lS6_S6_l: ; @_ZN9rocsolver6v33100L16mfma_gemm_kernelIdidPKPdS2_S4_EEv18rocblas_operation_S5_T0_S6_S6_T1_T2_lS6_S6_lT3_lS6_S6_lS7_T4_lS6_S6_l
; %bb.0:
	s_load_dword s0, s[4:5], 0x94
	s_load_dwordx4 s[24:27], s[4:5], 0x0
	v_and_b32_e32 v22, 0x3ff, v0
	v_bfe_u32 v0, v0, 10, 10
	v_lshrrev_b32_e32 v1, 6, v22
	s_waitcnt lgkmcnt(0)
	s_lshr_b32 s1, s0, 16
	s_bfe_u32 s0, s0, 0xa0006
	s_mul_i32 s7, s7, s1
	s_mul_i32 s6, s6, s0
	v_add_u32_e32 v0, s7, v0
	v_add_lshl_u32 v23, s6, v1, 4
	v_lshlrev_b32_e32 v24, 4, v0
	v_cmp_gt_i32_e32 vcc, s26, v23
	v_cmp_gt_i32_e64 s[0:1], s27, v24
	s_and_b64 s[0:1], vcc, s[0:1]
	s_and_saveexec_b64 s[2:3], s[0:1]
	s_cbranch_execz .LBB14_36
; %bb.1:
	s_ashr_i32 s0, s26, 31
	s_lshr_b32 s0, s0, 28
	s_add_i32 s0, s26, s0
	s_and_b32 s0, s0, -16
	s_sub_i32 s0, s26, s0
	s_load_dword s28, s[4:5], 0x10
	s_load_dwordx4 s[20:23], s[4:5], 0x18
	s_load_dwordx2 s[2:3], s[4:5], 0x28
	s_load_dwordx8 s[12:19], s[4:5], 0x58
	v_mov_b32_e32 v1, s0
	s_ashr_i32 s0, s27, 31
	s_lshr_b32 s0, s0, 28
	s_add_i32 s0, s27, s0
	v_add_u32_e32 v0, 16, v23
	s_and_b32 s0, s0, -16
	s_ashr_i32 s9, s8, 31
	v_cmp_lt_i32_e32 vcc, s26, v0
	s_sub_i32 s0, s27, s0
	s_lshl_b64 s[6:7], s[8:9], 3
	v_cndmask_b32_e32 v20, 16, v1, vcc
	v_mov_b32_e32 v1, s0
	s_waitcnt lgkmcnt(0)
	s_add_u32 s0, s16, s6
	s_addc_u32 s1, s17, s7
	s_load_dwordx2 s[10:11], s[0:1], 0x0
	v_add_u32_e32 v0, 16, v24
	v_cmp_lt_i32_e32 vcc, s27, v0
	v_cndmask_b32_e32 v25, 16, v1, vcc
	v_bfe_u32 v26, v22, 2, 4
	v_pk_mov_b32 v[6:7], 0, 0
	v_and_b32_e32 v21, 3, v22
	s_cmp_lt_i32 s28, 1
	v_cmp_lt_i32_e64 s[0:1], v26, v25
	v_mbcnt_lo_u32_b32 v27, -1, 0
	v_pk_mov_b32 v[4:5], v[6:7], v[6:7] op_sel:[0,1]
	v_pk_mov_b32 v[2:3], v[6:7], v[6:7] op_sel:[0,1]
	;; [unrolled: 1-line block ×3, first 2 shown]
	s_cbranch_scc1 .LBB14_28
; %bb.2:
	s_add_u32 s6, s22, s6
	s_addc_u32 s7, s23, s7
	s_load_dwordx2 s[16:17], s[6:7], 0x0
	s_load_dwordx2 s[22:23], s[4:5], 0x30
	s_load_dwordx4 s[36:39], s[4:5], 0x40
	s_load_dwordx2 s[30:31], s[4:5], 0x50
	s_lshl_b64 s[2:3], s[2:3], 3
	s_waitcnt lgkmcnt(0)
	s_add_u32 s6, s16, s2
	s_addc_u32 s7, s17, s3
	s_mul_i32 s2, s8, s13
	s_mul_hi_u32 s3, s8, s12
	s_add_i32 s2, s3, s2
	s_mul_i32 s3, s9, s12
	s_add_i32 s3, s2, s3
	s_mul_i32 s2, s8, s12
	s_lshl_b64 s[2:3], s[2:3], 3
	s_add_u32 s8, s36, s2
	s_addc_u32 s9, s37, s3
	s_lshl_b64 s[2:3], s[38:39], 3
	s_add_u32 s2, s8, s2
	s_addc_u32 s3, s9, s3
	s_cmpk_lg_i32 s24, 0x6f
	s_cselect_b64 s[12:13], -1, 0
	s_cmpk_eq_i32 s24, 0x6f
	s_cselect_b32 s8, s22, s23
	v_mul_lo_u32 v0, v23, s8
	v_ashrrev_i32_e32 v1, 31, v0
	s_cmpk_lg_i32 s25, 0x6f
	v_lshlrev_b64 v[0:1], 3, v[0:1]
	s_cselect_b64 s[16:17], -1, 0
	s_cmpk_eq_i32 s25, 0x6f
	v_add_co_u32_e32 v28, vcc, s6, v0
	s_cselect_b32 s6, s31, s30
	v_mov_b32_e32 v3, s7
	v_mul_lo_u32 v0, v24, s6
	v_addc_co_u32_e32 v29, vcc, v3, v1, vcc
	v_ashrrev_i32_e32 v1, 31, v0
	v_lshlrev_b64 v[0:1], 3, v[0:1]
	v_mov_b32_e32 v3, s3
	v_add_co_u32_e32 v30, vcc, s2, v0
	v_and_b32_e32 v2, 63, v22
	v_addc_co_u32_e32 v31, vcc, v3, v1, vcc
	v_and_b32_e32 v1, 15, v22
	v_lshrrev_b32_e32 v32, 4, v2
	v_mul_lo_u32 v0, v1, s22
	v_lshl_or_b32 v3, v1, 2, v32
	v_mul_lo_u32 v2, v1, s30
	v_mad_u64_u32 v[8:9], s[24:25], s23, v32, v[0:1]
	v_mul_lo_u32 v0, s22, v21
	s_lshl_b32 s26, s23, 2
	v_mad_u64_u32 v[10:11], s[24:25], v26, s23, v[0:1]
	s_lshl_b32 s27, s22, 2
	v_mul_lo_u32 v0, s30, v21
	v_mad_u64_u32 v[14:15], s[22:23], s31, v32, v[2:3]
	v_mbcnt_hi_u32_b32 v2, -1, v27
	v_cmp_lt_i32_e64 s[6:7], v1, v20
	v_cmp_lt_i32_e64 s[8:9], v1, v25
	v_mad_u64_u32 v[12:13], s[22:23], v26, s31, v[0:1]
	v_pk_mov_b32 v[0:1], 0, 0
	v_and_or_b32 v2, v2, 64, v3
	v_cmp_lt_i32_e64 s[2:3], v26, v20
	s_lshl_b32 s29, s30, 2
	s_lshl_b32 s30, s31, 2
	s_mov_b32 s31, 0
	v_lshlrev_b32_e32 v33, 2, v2
	v_pk_mov_b32 v[2:3], v[0:1], v[0:1] op_sel:[0,1]
	v_pk_mov_b32 v[4:5], v[0:1], v[0:1] op_sel:[0,1]
	;; [unrolled: 1-line block ×3, first 2 shown]
	s_branch .LBB14_6
.LBB14_3:                               ;   in Loop: Header=BB14_6 Depth=1
	s_or_b64 exec, exec, s[24:25]
.LBB14_4:                               ;   in Loop: Header=BB14_6 Depth=1
	s_or_b64 exec, exec, s[22:23]
	s_waitcnt vmcnt(0)
	ds_bpermute_b32 v18, v33, v18
	ds_bpermute_b32 v19, v33, v19
.LBB14_5:                               ;   in Loop: Header=BB14_6 Depth=1
	s_waitcnt vmcnt(0) lgkmcnt(0)
	v_mfma_f64_16x16x4f64 v[0:7], v[16:17], v[18:19], v[0:7]
	s_add_i32 s31, s31, 4
	s_cmp_ge_i32 s31, s28
	v_add_u32_e32 v8, s26, v8
	v_add_u32_e32 v10, s27, v10
	;; [unrolled: 1-line block ×4, first 2 shown]
	s_cbranch_scc1 .LBB14_28
.LBB14_6:                               ; =>This Inner Loop Header: Depth=1
	s_and_b64 vcc, exec, s[12:13]
	s_cbranch_vccz .LBB14_18
; %bb.7:                                ;   in Loop: Header=BB14_6 Depth=1
	v_pk_mov_b32 v[16:17], 0, 0
	s_and_saveexec_b64 s[22:23], s[2:3]
	s_cbranch_execz .LBB14_11
; %bb.8:                                ;   in Loop: Header=BB14_6 Depth=1
	v_add_u32_e32 v9, s31, v21
	v_cmp_gt_i32_e32 vcc, s28, v9
	v_pk_mov_b32 v[16:17], 0, 0
	s_and_saveexec_b64 s[24:25], vcc
	s_cbranch_execz .LBB14_10
; %bb.9:                                ;   in Loop: Header=BB14_6 Depth=1
	v_ashrrev_i32_e32 v11, 31, v10
	v_lshlrev_b64 v[16:17], 3, v[10:11]
	v_add_co_u32_e32 v16, vcc, v28, v16
	v_addc_co_u32_e32 v17, vcc, v29, v17, vcc
	global_load_dwordx2 v[16:17], v[16:17], off
.LBB14_10:                              ;   in Loop: Header=BB14_6 Depth=1
	s_or_b64 exec, exec, s[24:25]
.LBB14_11:                              ;   in Loop: Header=BB14_6 Depth=1
	s_or_b64 exec, exec, s[22:23]
	s_waitcnt vmcnt(0)
	ds_bpermute_b32 v16, v33, v16
	ds_bpermute_b32 v17, v33, v17
.LBB14_12:                              ;   in Loop: Header=BB14_6 Depth=1
	s_and_b64 vcc, exec, s[16:17]
	s_cbranch_vccz .LBB14_24
.LBB14_13:                              ;   in Loop: Header=BB14_6 Depth=1
	v_pk_mov_b32 v[18:19], 0, 0
	s_and_saveexec_b64 s[22:23], s[8:9]
	s_cbranch_execz .LBB14_17
; %bb.14:                               ;   in Loop: Header=BB14_6 Depth=1
	v_add_u32_e32 v9, s31, v32
	v_cmp_gt_i32_e32 vcc, s28, v9
	v_pk_mov_b32 v[18:19], 0, 0
	s_and_saveexec_b64 s[24:25], vcc
	s_cbranch_execz .LBB14_16
; %bb.15:                               ;   in Loop: Header=BB14_6 Depth=1
	v_ashrrev_i32_e32 v15, 31, v14
	v_lshlrev_b64 v[18:19], 3, v[14:15]
	v_add_co_u32_e32 v18, vcc, v30, v18
	v_addc_co_u32_e32 v19, vcc, v31, v19, vcc
	global_load_dwordx2 v[18:19], v[18:19], off
.LBB14_16:                              ;   in Loop: Header=BB14_6 Depth=1
	s_or_b64 exec, exec, s[24:25]
.LBB14_17:                              ;   in Loop: Header=BB14_6 Depth=1
	s_or_b64 exec, exec, s[22:23]
	s_cbranch_execnz .LBB14_5
	s_branch .LBB14_25
.LBB14_18:                              ;   in Loop: Header=BB14_6 Depth=1
                                        ; implicit-def: $vgpr16_vgpr17
	s_cbranch_execz .LBB14_12
; %bb.19:                               ;   in Loop: Header=BB14_6 Depth=1
	s_waitcnt lgkmcnt(0)
	v_pk_mov_b32 v[16:17], 0, 0
	s_and_saveexec_b64 s[22:23], s[6:7]
	s_cbranch_execz .LBB14_23
; %bb.20:                               ;   in Loop: Header=BB14_6 Depth=1
	v_add_u32_e32 v9, s31, v32
	v_cmp_gt_i32_e32 vcc, s28, v9
	v_pk_mov_b32 v[16:17], 0, 0
	s_and_saveexec_b64 s[24:25], vcc
	s_cbranch_execz .LBB14_22
; %bb.21:                               ;   in Loop: Header=BB14_6 Depth=1
	v_ashrrev_i32_e32 v9, 31, v8
	v_lshlrev_b64 v[16:17], 3, v[8:9]
	v_add_co_u32_e32 v16, vcc, v28, v16
	v_addc_co_u32_e32 v17, vcc, v29, v17, vcc
	global_load_dwordx2 v[16:17], v[16:17], off
.LBB14_22:                              ;   in Loop: Header=BB14_6 Depth=1
	s_or_b64 exec, exec, s[24:25]
.LBB14_23:                              ;   in Loop: Header=BB14_6 Depth=1
	s_or_b64 exec, exec, s[22:23]
	s_and_b64 vcc, exec, s[16:17]
	s_cbranch_vccnz .LBB14_13
.LBB14_24:                              ;   in Loop: Header=BB14_6 Depth=1
                                        ; implicit-def: $vgpr18_vgpr19
.LBB14_25:                              ;   in Loop: Header=BB14_6 Depth=1
	s_waitcnt vmcnt(0)
	v_pk_mov_b32 v[18:19], 0, 0
	s_and_saveexec_b64 s[22:23], s[0:1]
	s_cbranch_execz .LBB14_4
; %bb.26:                               ;   in Loop: Header=BB14_6 Depth=1
	v_add_u32_e32 v9, s31, v21
	v_cmp_gt_i32_e32 vcc, s28, v9
	v_pk_mov_b32 v[18:19], 0, 0
	s_and_saveexec_b64 s[24:25], vcc
	s_cbranch_execz .LBB14_3
; %bb.27:                               ;   in Loop: Header=BB14_6 Depth=1
	v_ashrrev_i32_e32 v13, 31, v12
	v_lshlrev_b64 v[18:19], 3, v[12:13]
	v_add_co_u32_e32 v18, vcc, v30, v18
	v_addc_co_u32_e32 v19, vcc, v31, v19, vcc
	global_load_dwordx2 v[18:19], v[18:19], off
	s_branch .LBB14_3
.LBB14_28:
	s_load_dwordx2 s[2:3], s[4:5], 0x78
	s_lshl_b64 s[0:1], s[18:19], 3
	s_waitcnt lgkmcnt(0)
	s_add_u32 s4, s10, s0
	s_addc_u32 s5, s11, s1
	v_mov_b32_e32 v11, s5
	v_mul_lo_u32 v8, v23, s2
	v_mad_u64_u32 v[8:9], s[0:1], v24, s3, v[8:9]
	v_ashrrev_i32_e32 v9, 31, v8
	v_lshlrev_b64 v[8:9], 3, v[8:9]
	v_add_co_u32_e32 v10, vcc, s4, v8
	v_addc_co_u32_e32 v11, vcc, v11, v9, vcc
	v_lshlrev_b32_e32 v8, 4, v22
	v_mbcnt_hi_u32_b32 v9, -1, v27
	v_and_b32_e32 v8, 48, v8
	v_and_b32_e32 v9, 64, v9
	v_or3_b32 v8, v8, v9, v26
	v_lshlrev_b32_e32 v12, 2, v8
	ds_bpermute_b32 v8, v12, v0
	ds_bpermute_b32 v9, v12, v1
	v_cmp_lt_i32_e32 vcc, v26, v25
	v_cmp_lt_i32_e64 s[0:1], v21, v20
	v_mul_lo_u32 v0, v26, s3
	s_and_b64 s[0:1], vcc, s[0:1]
	s_and_saveexec_b64 s[4:5], s[0:1]
	s_cbranch_execz .LBB14_30
; %bb.29:
	v_mad_u64_u32 v[14:15], s[0:1], v21, s2, v[0:1]
	v_ashrrev_i32_e32 v15, 31, v14
	v_lshlrev_b64 v[14:15], 3, v[14:15]
	v_add_co_u32_e64 v14, s[0:1], v10, v14
	v_addc_co_u32_e64 v15, s[0:1], v11, v15, s[0:1]
	global_load_dwordx2 v[16:17], v[14:15], off
	s_waitcnt vmcnt(0)
	v_mul_f64 v[16:17], v[16:17], s[14:15]
	s_waitcnt lgkmcnt(0)
	v_fmac_f64_e32 v[16:17], s[20:21], v[8:9]
	global_store_dwordx2 v[14:15], v[16:17], off
.LBB14_30:
	s_or_b64 exec, exec, s[4:5]
	ds_bpermute_b32 v2, v12, v2
	ds_bpermute_b32 v3, v12, v3
	v_or_b32_e32 v1, 4, v21
	v_cmp_lt_i32_e64 s[0:1], v1, v20
	s_and_b64 s[0:1], vcc, s[0:1]
	s_and_saveexec_b64 s[4:5], s[0:1]
	s_cbranch_execz .LBB14_32
; %bb.31:
	s_waitcnt lgkmcnt(2)
	v_mad_u64_u32 v[8:9], s[0:1], v1, s2, v[0:1]
	v_ashrrev_i32_e32 v9, 31, v8
	v_lshlrev_b64 v[8:9], 3, v[8:9]
	v_add_co_u32_e64 v8, s[0:1], v10, v8
	v_addc_co_u32_e64 v9, s[0:1], v11, v9, s[0:1]
	global_load_dwordx2 v[14:15], v[8:9], off
	s_waitcnt vmcnt(0)
	v_mul_f64 v[14:15], v[14:15], s[14:15]
	s_waitcnt lgkmcnt(0)
	v_fmac_f64_e32 v[14:15], s[20:21], v[2:3]
	global_store_dwordx2 v[8:9], v[14:15], off
.LBB14_32:
	s_or_b64 exec, exec, s[4:5]
	s_waitcnt lgkmcnt(1)
	ds_bpermute_b32 v2, v12, v4
	s_waitcnt lgkmcnt(1)
	ds_bpermute_b32 v3, v12, v5
	v_or_b32_e32 v1, 8, v21
	v_cmp_lt_i32_e64 s[0:1], v1, v20
	s_and_b64 s[0:1], vcc, s[0:1]
	s_and_saveexec_b64 s[4:5], s[0:1]
	s_cbranch_execz .LBB14_34
; %bb.33:
	v_mad_u64_u32 v[4:5], s[0:1], v1, s2, v[0:1]
	v_ashrrev_i32_e32 v5, 31, v4
	v_lshlrev_b64 v[4:5], 3, v[4:5]
	v_add_co_u32_e64 v4, s[0:1], v10, v4
	v_addc_co_u32_e64 v5, s[0:1], v11, v5, s[0:1]
	global_load_dwordx2 v[8:9], v[4:5], off
	s_waitcnt vmcnt(0)
	v_mul_f64 v[8:9], v[8:9], s[14:15]
	s_waitcnt lgkmcnt(0)
	v_fmac_f64_e32 v[8:9], s[20:21], v[2:3]
	global_store_dwordx2 v[4:5], v[8:9], off
.LBB14_34:
	s_or_b64 exec, exec, s[4:5]
	s_waitcnt lgkmcnt(1)
	ds_bpermute_b32 v2, v12, v6
	s_waitcnt lgkmcnt(1)
	ds_bpermute_b32 v3, v12, v7
	v_or_b32_e32 v1, 12, v21
	v_cmp_lt_i32_e64 s[0:1], v1, v20
	s_and_b64 s[0:1], vcc, s[0:1]
	s_and_b64 exec, exec, s[0:1]
	s_cbranch_execz .LBB14_36
; %bb.35:
	v_mad_u64_u32 v[0:1], s[0:1], v1, s2, v[0:1]
	v_ashrrev_i32_e32 v1, 31, v0
	v_lshlrev_b64 v[0:1], 3, v[0:1]
	v_add_co_u32_e32 v0, vcc, v10, v0
	v_addc_co_u32_e32 v1, vcc, v11, v1, vcc
	global_load_dwordx2 v[4:5], v[0:1], off
	s_waitcnt vmcnt(0)
	v_mul_f64 v[4:5], v[4:5], s[14:15]
	s_waitcnt lgkmcnt(0)
	v_fmac_f64_e32 v[4:5], s[20:21], v[2:3]
	global_store_dwordx2 v[0:1], v[4:5], off
.LBB14_36:
	s_endpgm
	.section	.rodata,"a",@progbits
	.p2align	6, 0x0
	.amdhsa_kernel _ZN9rocsolver6v33100L16mfma_gemm_kernelIdidPKPdS2_S4_EEv18rocblas_operation_S5_T0_S6_S6_T1_T2_lS6_S6_lT3_lS6_S6_lS7_T4_lS6_S6_l
		.amdhsa_group_segment_fixed_size 0
		.amdhsa_private_segment_fixed_size 0
		.amdhsa_kernarg_size 392
		.amdhsa_user_sgpr_count 6
		.amdhsa_user_sgpr_private_segment_buffer 1
		.amdhsa_user_sgpr_dispatch_ptr 0
		.amdhsa_user_sgpr_queue_ptr 0
		.amdhsa_user_sgpr_kernarg_segment_ptr 1
		.amdhsa_user_sgpr_dispatch_id 0
		.amdhsa_user_sgpr_flat_scratch_init 0
		.amdhsa_user_sgpr_kernarg_preload_length 0
		.amdhsa_user_sgpr_kernarg_preload_offset 0
		.amdhsa_user_sgpr_private_segment_size 0
		.amdhsa_uses_dynamic_stack 0
		.amdhsa_system_sgpr_private_segment_wavefront_offset 0
		.amdhsa_system_sgpr_workgroup_id_x 1
		.amdhsa_system_sgpr_workgroup_id_y 1
		.amdhsa_system_sgpr_workgroup_id_z 1
		.amdhsa_system_sgpr_workgroup_info 0
		.amdhsa_system_vgpr_workitem_id 1
		.amdhsa_next_free_vgpr 34
		.amdhsa_next_free_sgpr 40
		.amdhsa_accum_offset 36
		.amdhsa_reserve_vcc 1
		.amdhsa_reserve_flat_scratch 0
		.amdhsa_float_round_mode_32 0
		.amdhsa_float_round_mode_16_64 0
		.amdhsa_float_denorm_mode_32 3
		.amdhsa_float_denorm_mode_16_64 3
		.amdhsa_dx10_clamp 1
		.amdhsa_ieee_mode 1
		.amdhsa_fp16_overflow 0
		.amdhsa_tg_split 0
		.amdhsa_exception_fp_ieee_invalid_op 0
		.amdhsa_exception_fp_denorm_src 0
		.amdhsa_exception_fp_ieee_div_zero 0
		.amdhsa_exception_fp_ieee_overflow 0
		.amdhsa_exception_fp_ieee_underflow 0
		.amdhsa_exception_fp_ieee_inexact 0
		.amdhsa_exception_int_div_zero 0
	.end_amdhsa_kernel
	.section	.text._ZN9rocsolver6v33100L16mfma_gemm_kernelIdidPKPdS2_S4_EEv18rocblas_operation_S5_T0_S6_S6_T1_T2_lS6_S6_lT3_lS6_S6_lS7_T4_lS6_S6_l,"axG",@progbits,_ZN9rocsolver6v33100L16mfma_gemm_kernelIdidPKPdS2_S4_EEv18rocblas_operation_S5_T0_S6_S6_T1_T2_lS6_S6_lT3_lS6_S6_lS7_T4_lS6_S6_l,comdat
.Lfunc_end14:
	.size	_ZN9rocsolver6v33100L16mfma_gemm_kernelIdidPKPdS2_S4_EEv18rocblas_operation_S5_T0_S6_S6_T1_T2_lS6_S6_lT3_lS6_S6_lS7_T4_lS6_S6_l, .Lfunc_end14-_ZN9rocsolver6v33100L16mfma_gemm_kernelIdidPKPdS2_S4_EEv18rocblas_operation_S5_T0_S6_S6_T1_T2_lS6_S6_lT3_lS6_S6_lS7_T4_lS6_S6_l
                                        ; -- End function
	.section	.AMDGPU.csdata,"",@progbits
; Kernel info:
; codeLenInByte = 1696
; NumSgprs: 44
; NumVgprs: 34
; NumAgprs: 0
; TotalNumVgprs: 34
; ScratchSize: 0
; MemoryBound: 0
; FloatMode: 240
; IeeeMode: 1
; LDSByteSize: 0 bytes/workgroup (compile time only)
; SGPRBlocks: 5
; VGPRBlocks: 4
; NumSGPRsForWavesPerEU: 44
; NumVGPRsForWavesPerEU: 34
; AccumOffset: 36
; Occupancy: 8
; WaveLimiterHint : 1
; COMPUTE_PGM_RSRC2:SCRATCH_EN: 0
; COMPUTE_PGM_RSRC2:USER_SGPR: 6
; COMPUTE_PGM_RSRC2:TRAP_HANDLER: 0
; COMPUTE_PGM_RSRC2:TGID_X_EN: 1
; COMPUTE_PGM_RSRC2:TGID_Y_EN: 1
; COMPUTE_PGM_RSRC2:TGID_Z_EN: 1
; COMPUTE_PGM_RSRC2:TIDIG_COMP_CNT: 1
; COMPUTE_PGM_RSRC3_GFX90A:ACCUM_OFFSET: 8
; COMPUTE_PGM_RSRC3_GFX90A:TG_SPLIT: 0
	.section	.text._ZN9rocsolver6v33100L11gemm_kernelIdiPKdPKPdS4_S6_EEvT0_S7_S7_T1_bT2_lS7_S7_lbT3_lS7_S7_lS8_T4_lS7_S7_l,"axG",@progbits,_ZN9rocsolver6v33100L11gemm_kernelIdiPKdPKPdS4_S6_EEvT0_S7_S7_T1_bT2_lS7_S7_lbT3_lS7_S7_lS8_T4_lS7_S7_l,comdat
	.globl	_ZN9rocsolver6v33100L11gemm_kernelIdiPKdPKPdS4_S6_EEvT0_S7_S7_T1_bT2_lS7_S7_lbT3_lS7_S7_lS8_T4_lS7_S7_l ; -- Begin function _ZN9rocsolver6v33100L11gemm_kernelIdiPKdPKPdS4_S6_EEvT0_S7_S7_T1_bT2_lS7_S7_lbT3_lS7_S7_lS8_T4_lS7_S7_l
	.p2align	8
	.type	_ZN9rocsolver6v33100L11gemm_kernelIdiPKdPKPdS4_S6_EEvT0_S7_S7_T1_bT2_lS7_S7_lbT3_lS7_S7_lS8_T4_lS7_S7_l,@function
_ZN9rocsolver6v33100L11gemm_kernelIdiPKdPKPdS4_S6_EEvT0_S7_S7_T1_bT2_lS7_S7_lbT3_lS7_S7_lS8_T4_lS7_S7_l: ; @_ZN9rocsolver6v33100L11gemm_kernelIdiPKdPKPdS4_S6_EEvT0_S7_S7_T1_bT2_lS7_S7_lbT3_lS7_S7_lS8_T4_lS7_S7_l
; %bb.0:
	s_load_dword s9, s[4:5], 0x9c
	s_load_dwordx4 s[0:3], s[4:5], 0x0
	v_and_b32_e32 v1, 0x3ff, v0
	v_bfe_u32 v0, v0, 10, 10
	s_waitcnt lgkmcnt(0)
	s_and_b32 s3, s9, 0xffff
	s_lshr_b32 s9, s9, 16
	s_mul_i32 s7, s7, s9
	s_mul_i32 s6, s6, s3
	v_add_u32_e32 v6, s6, v1
	v_add_u32_e32 v7, s7, v0
	v_cmp_gt_i32_e32 vcc, s0, v6
	v_cmp_gt_i32_e64 s[0:1], s1, v7
	s_and_b64 s[0:1], vcc, s[0:1]
	s_and_saveexec_b64 s[6:7], s[0:1]
	s_cbranch_execz .LBB15_6
; %bb.1:
	s_load_dwordx8 s[12:19], s[4:5], 0x60
	s_load_dwordx2 s[0:1], s[4:5], 0x10
	s_ashr_i32 s9, s8, 31
	s_lshl_b64 s[10:11], s[8:9], 3
	s_waitcnt lgkmcnt(0)
	s_add_u32 s6, s16, s10
	s_addc_u32 s7, s17, s11
	s_load_dwordx2 s[6:7], s[6:7], 0x0
	s_cmp_lt_i32 s2, 1
	s_cbranch_scc1 .LBB15_4
; %bb.2:
	s_load_dwordx4 s[20:23], s[4:5], 0x20
	s_load_dwordx2 s[16:17], s[4:5], 0x30
	s_load_dwordx4 s[24:27], s[4:5], 0x48
	s_load_dwordx2 s[28:29], s[4:5], 0x58
	s_mul_i32 s3, s12, s9
	s_waitcnt lgkmcnt(0)
	s_add_u32 s10, s20, s10
	s_mul_hi_u32 s9, s12, s8
	s_addc_u32 s11, s21, s11
	s_add_i32 s3, s9, s3
	s_mul_i32 s9, s13, s8
	s_add_i32 s9, s3, s9
	s_mul_i32 s8, s12, s8
	s_lshl_b64 s[8:9], s[8:9], 3
	s_lshl_b64 s[12:13], s[26:27], 3
	s_load_dwordx2 s[10:11], s[10:11], 0x0
	s_add_u32 s3, s8, s12
	s_addc_u32 s8, s9, s13
	v_mul_lo_u32 v2, v7, s29
	s_add_u32 s3, s24, s3
	v_ashrrev_i32_e32 v3, 31, v2
	s_addc_u32 s8, s25, s8
	s_ashr_i32 s29, s28, 31
	v_lshlrev_b64 v[2:3], 3, v[2:3]
	v_mov_b32_e32 v1, s8
	s_lshl_b64 s[8:9], s[28:29], 3
	s_lshl_b64 s[12:13], s[22:23], 3
	v_mul_lo_u32 v0, v6, s16
	v_add_co_u32_e32 v2, vcc, s3, v2
	s_waitcnt lgkmcnt(0)
	s_add_u32 s3, s10, s12
	v_addc_co_u32_e32 v3, vcc, v1, v3, vcc
	v_ashrrev_i32_e32 v1, 31, v0
	s_addc_u32 s10, s11, s13
	v_lshlrev_b64 v[0:1], 3, v[0:1]
	v_mov_b32_e32 v5, s10
	s_ashr_i32 s11, s17, 31
	s_mov_b32 s10, s17
	v_add_co_u32_e32 v4, vcc, s3, v0
	s_lshl_b64 s[10:11], s[10:11], 3
	v_addc_co_u32_e32 v5, vcc, v5, v1, vcc
	v_pk_mov_b32 v[0:1], 0, 0
	v_mov_b32_e32 v8, s9
	v_mov_b32_e32 v9, s11
.LBB15_3:                               ; =>This Inner Loop Header: Depth=1
	global_load_dwordx2 v[10:11], v[4:5], off
	global_load_dwordx2 v[12:13], v[2:3], off
	v_add_co_u32_e32 v2, vcc, s8, v2
	v_addc_co_u32_e32 v3, vcc, v3, v8, vcc
	v_add_co_u32_e32 v4, vcc, s10, v4
	s_add_i32 s2, s2, -1
	v_addc_co_u32_e32 v5, vcc, v5, v9, vcc
	s_cmp_eq_u32 s2, 0
	s_waitcnt vmcnt(0)
	v_fmac_f64_e32 v[0:1], v[10:11], v[12:13]
	s_cbranch_scc0 .LBB15_3
	s_branch .LBB15_5
.LBB15_4:
	v_pk_mov_b32 v[0:1], 0, 0
.LBB15_5:
	s_load_dwordx2 s[2:3], s[0:1], 0x0
	s_load_dwordx2 s[8:9], s[14:15], 0x0
                                        ; kill: killed $sgpr0_sgpr1
                                        ; kill: killed $sgpr14_sgpr15
	s_nop 0
	s_load_dwordx2 s[0:1], s[4:5], 0x80
	s_lshl_b64 s[4:5], s[18:19], 3
	s_waitcnt lgkmcnt(0)
	s_add_u32 s4, s6, s4
	s_addc_u32 s5, s7, s5
	v_mov_b32_e32 v4, s5
	v_mul_lo_u32 v2, v6, s0
	v_mad_u64_u32 v[2:3], s[0:1], v7, s1, v[2:3]
	v_ashrrev_i32_e32 v3, 31, v2
	v_lshlrev_b64 v[2:3], 3, v[2:3]
	v_add_co_u32_e32 v2, vcc, s4, v2
	v_addc_co_u32_e32 v3, vcc, v4, v3, vcc
	global_load_dwordx2 v[4:5], v[2:3], off
	s_waitcnt vmcnt(0)
	v_mul_f64 v[4:5], s[8:9], v[4:5]
	v_fmac_f64_e32 v[4:5], s[2:3], v[0:1]
	global_store_dwordx2 v[2:3], v[4:5], off
.LBB15_6:
	s_endpgm
	.section	.rodata,"a",@progbits
	.p2align	6, 0x0
	.amdhsa_kernel _ZN9rocsolver6v33100L11gemm_kernelIdiPKdPKPdS4_S6_EEvT0_S7_S7_T1_bT2_lS7_S7_lbT3_lS7_S7_lS8_T4_lS7_S7_l
		.amdhsa_group_segment_fixed_size 0
		.amdhsa_private_segment_fixed_size 0
		.amdhsa_kernarg_size 400
		.amdhsa_user_sgpr_count 6
		.amdhsa_user_sgpr_private_segment_buffer 1
		.amdhsa_user_sgpr_dispatch_ptr 0
		.amdhsa_user_sgpr_queue_ptr 0
		.amdhsa_user_sgpr_kernarg_segment_ptr 1
		.amdhsa_user_sgpr_dispatch_id 0
		.amdhsa_user_sgpr_flat_scratch_init 0
		.amdhsa_user_sgpr_kernarg_preload_length 0
		.amdhsa_user_sgpr_kernarg_preload_offset 0
		.amdhsa_user_sgpr_private_segment_size 0
		.amdhsa_uses_dynamic_stack 0
		.amdhsa_system_sgpr_private_segment_wavefront_offset 0
		.amdhsa_system_sgpr_workgroup_id_x 1
		.amdhsa_system_sgpr_workgroup_id_y 1
		.amdhsa_system_sgpr_workgroup_id_z 1
		.amdhsa_system_sgpr_workgroup_info 0
		.amdhsa_system_vgpr_workitem_id 1
		.amdhsa_next_free_vgpr 14
		.amdhsa_next_free_sgpr 30
		.amdhsa_accum_offset 16
		.amdhsa_reserve_vcc 1
		.amdhsa_reserve_flat_scratch 0
		.amdhsa_float_round_mode_32 0
		.amdhsa_float_round_mode_16_64 0
		.amdhsa_float_denorm_mode_32 3
		.amdhsa_float_denorm_mode_16_64 3
		.amdhsa_dx10_clamp 1
		.amdhsa_ieee_mode 1
		.amdhsa_fp16_overflow 0
		.amdhsa_tg_split 0
		.amdhsa_exception_fp_ieee_invalid_op 0
		.amdhsa_exception_fp_denorm_src 0
		.amdhsa_exception_fp_ieee_div_zero 0
		.amdhsa_exception_fp_ieee_overflow 0
		.amdhsa_exception_fp_ieee_underflow 0
		.amdhsa_exception_fp_ieee_inexact 0
		.amdhsa_exception_int_div_zero 0
	.end_amdhsa_kernel
	.section	.text._ZN9rocsolver6v33100L11gemm_kernelIdiPKdPKPdS4_S6_EEvT0_S7_S7_T1_bT2_lS7_S7_lbT3_lS7_S7_lS8_T4_lS7_S7_l,"axG",@progbits,_ZN9rocsolver6v33100L11gemm_kernelIdiPKdPKPdS4_S6_EEvT0_S7_S7_T1_bT2_lS7_S7_lbT3_lS7_S7_lS8_T4_lS7_S7_l,comdat
.Lfunc_end15:
	.size	_ZN9rocsolver6v33100L11gemm_kernelIdiPKdPKPdS4_S6_EEvT0_S7_S7_T1_bT2_lS7_S7_lbT3_lS7_S7_lS8_T4_lS7_S7_l, .Lfunc_end15-_ZN9rocsolver6v33100L11gemm_kernelIdiPKdPKPdS4_S6_EEvT0_S7_S7_T1_bT2_lS7_S7_lbT3_lS7_S7_lS8_T4_lS7_S7_l
                                        ; -- End function
	.section	.AMDGPU.csdata,"",@progbits
; Kernel info:
; codeLenInByte = 540
; NumSgprs: 34
; NumVgprs: 14
; NumAgprs: 0
; TotalNumVgprs: 14
; ScratchSize: 0
; MemoryBound: 0
; FloatMode: 240
; IeeeMode: 1
; LDSByteSize: 0 bytes/workgroup (compile time only)
; SGPRBlocks: 4
; VGPRBlocks: 1
; NumSGPRsForWavesPerEU: 34
; NumVGPRsForWavesPerEU: 14
; AccumOffset: 16
; Occupancy: 8
; WaveLimiterHint : 1
; COMPUTE_PGM_RSRC2:SCRATCH_EN: 0
; COMPUTE_PGM_RSRC2:USER_SGPR: 6
; COMPUTE_PGM_RSRC2:TRAP_HANDLER: 0
; COMPUTE_PGM_RSRC2:TGID_X_EN: 1
; COMPUTE_PGM_RSRC2:TGID_Y_EN: 1
; COMPUTE_PGM_RSRC2:TGID_Z_EN: 1
; COMPUTE_PGM_RSRC2:TIDIG_COMP_CNT: 1
; COMPUTE_PGM_RSRC3_GFX90A:ACCUM_OFFSET: 3
; COMPUTE_PGM_RSRC3_GFX90A:TG_SPLIT: 0
	.section	.text._ZN9rocsolver6v33100L11gemm_kernelIdidPKPdS2_S4_EEvT0_S5_S5_T1_bT2_lS5_S5_lbT3_lS5_S5_lS6_T4_lS5_S5_l,"axG",@progbits,_ZN9rocsolver6v33100L11gemm_kernelIdidPKPdS2_S4_EEvT0_S5_S5_T1_bT2_lS5_S5_lbT3_lS5_S5_lS6_T4_lS5_S5_l,comdat
	.globl	_ZN9rocsolver6v33100L11gemm_kernelIdidPKPdS2_S4_EEvT0_S5_S5_T1_bT2_lS5_S5_lbT3_lS5_S5_lS6_T4_lS5_S5_l ; -- Begin function _ZN9rocsolver6v33100L11gemm_kernelIdidPKPdS2_S4_EEvT0_S5_S5_T1_bT2_lS5_S5_lbT3_lS5_S5_lS6_T4_lS5_S5_l
	.p2align	8
	.type	_ZN9rocsolver6v33100L11gemm_kernelIdidPKPdS2_S4_EEvT0_S5_S5_T1_bT2_lS5_S5_lbT3_lS5_S5_lS6_T4_lS5_S5_l,@function
_ZN9rocsolver6v33100L11gemm_kernelIdidPKPdS2_S4_EEvT0_S5_S5_T1_bT2_lS5_S5_lbT3_lS5_S5_lS6_T4_lS5_S5_l: ; @_ZN9rocsolver6v33100L11gemm_kernelIdidPKPdS2_S4_EEvT0_S5_S5_T1_bT2_lS5_S5_lbT3_lS5_S5_lS6_T4_lS5_S5_l
; %bb.0:
	s_load_dword s9, s[4:5], 0x9c
	s_load_dwordx4 s[0:3], s[4:5], 0x0
	v_and_b32_e32 v1, 0x3ff, v0
	v_bfe_u32 v0, v0, 10, 10
	s_waitcnt lgkmcnt(0)
	s_and_b32 s3, s9, 0xffff
	s_lshr_b32 s9, s9, 16
	s_mul_i32 s7, s7, s9
	s_mul_i32 s6, s6, s3
	v_add_u32_e32 v6, s6, v1
	v_add_u32_e32 v7, s7, v0
	v_cmp_gt_i32_e32 vcc, s0, v6
	v_cmp_gt_i32_e64 s[0:1], s1, v7
	s_and_b64 s[0:1], vcc, s[0:1]
	s_and_saveexec_b64 s[6:7], s[0:1]
	s_cbranch_execz .LBB16_6
; %bb.1:
	s_load_dwordx8 s[12:19], s[4:5], 0x60
	s_ashr_i32 s9, s8, 31
	s_lshl_b64 s[6:7], s[8:9], 3
	s_waitcnt lgkmcnt(0)
	s_add_u32 s0, s16, s6
	s_addc_u32 s1, s17, s7
	s_load_dwordx2 s[0:1], s[0:1], 0x0
	s_cmp_lt_i32 s2, 1
	s_cbranch_scc1 .LBB16_4
; %bb.2:
	s_load_dwordx4 s[20:23], s[4:5], 0x20
	s_load_dwordx2 s[10:11], s[4:5], 0x30
	s_load_dwordx4 s[24:27], s[4:5], 0x48
	s_load_dwordx2 s[16:17], s[4:5], 0x58
	s_mul_i32 s3, s12, s9
	s_waitcnt lgkmcnt(0)
	s_add_u32 s6, s20, s6
	s_addc_u32 s7, s21, s7
	s_load_dwordx2 s[20:21], s[6:7], 0x0
	s_mul_hi_u32 s6, s12, s8
	s_add_i32 s3, s6, s3
	s_mul_i32 s6, s13, s8
	s_add_i32 s7, s3, s6
	s_mul_i32 s6, s12, s8
	s_lshl_b64 s[6:7], s[6:7], 3
	s_lshl_b64 s[8:9], s[26:27], 3
	s_add_u32 s3, s6, s8
	s_addc_u32 s6, s7, s9
	v_mul_lo_u32 v2, v7, s17
	s_add_u32 s3, s24, s3
	v_ashrrev_i32_e32 v3, 31, v2
	s_addc_u32 s6, s25, s6
	s_ashr_i32 s17, s16, 31
	v_lshlrev_b64 v[2:3], 3, v[2:3]
	v_mov_b32_e32 v1, s6
	s_lshl_b64 s[6:7], s[16:17], 3
	s_lshl_b64 s[8:9], s[22:23], 3
	v_mul_lo_u32 v0, v6, s10
	v_add_co_u32_e32 v2, vcc, s3, v2
	s_waitcnt lgkmcnt(0)
	s_add_u32 s3, s20, s8
	v_addc_co_u32_e32 v3, vcc, v1, v3, vcc
	v_ashrrev_i32_e32 v1, 31, v0
	s_addc_u32 s8, s21, s9
	v_lshlrev_b64 v[0:1], 3, v[0:1]
	v_mov_b32_e32 v5, s8
	s_ashr_i32 s9, s11, 31
	s_mov_b32 s8, s11
	v_add_co_u32_e32 v4, vcc, s3, v0
	s_lshl_b64 s[8:9], s[8:9], 3
	v_addc_co_u32_e32 v5, vcc, v5, v1, vcc
	v_pk_mov_b32 v[0:1], 0, 0
	v_mov_b32_e32 v8, s7
	v_mov_b32_e32 v9, s9
.LBB16_3:                               ; =>This Inner Loop Header: Depth=1
	global_load_dwordx2 v[10:11], v[4:5], off
	global_load_dwordx2 v[12:13], v[2:3], off
	v_add_co_u32_e32 v2, vcc, s6, v2
	v_addc_co_u32_e32 v3, vcc, v3, v8, vcc
	v_add_co_u32_e32 v4, vcc, s8, v4
	s_add_i32 s2, s2, -1
	v_addc_co_u32_e32 v5, vcc, v5, v9, vcc
	s_cmp_eq_u32 s2, 0
	s_waitcnt vmcnt(0)
	v_fmac_f64_e32 v[0:1], v[10:11], v[12:13]
	s_cbranch_scc0 .LBB16_3
	s_branch .LBB16_5
.LBB16_4:
	v_pk_mov_b32 v[0:1], 0, 0
.LBB16_5:
	s_load_dwordx2 s[2:3], s[4:5], 0x80
	s_lshl_b64 s[6:7], s[18:19], 3
	s_waitcnt lgkmcnt(0)
	s_add_u32 s6, s0, s6
	s_addc_u32 s7, s1, s7
	v_mov_b32_e32 v4, s7
	v_mul_lo_u32 v2, v6, s2
	v_mad_u64_u32 v[2:3], s[0:1], v7, s3, v[2:3]
	v_ashrrev_i32_e32 v3, 31, v2
	v_lshlrev_b64 v[2:3], 3, v[2:3]
	v_add_co_u32_e32 v2, vcc, s6, v2
	v_addc_co_u32_e32 v3, vcc, v4, v3, vcc
	global_load_dwordx2 v[4:5], v[2:3], off
	s_load_dwordx2 s[0:1], s[4:5], 0x10
	s_waitcnt vmcnt(0)
	v_mul_f64 v[4:5], v[4:5], s[14:15]
	s_waitcnt lgkmcnt(0)
	v_fmac_f64_e32 v[4:5], s[0:1], v[0:1]
	global_store_dwordx2 v[2:3], v[4:5], off
.LBB16_6:
	s_endpgm
	.section	.rodata,"a",@progbits
	.p2align	6, 0x0
	.amdhsa_kernel _ZN9rocsolver6v33100L11gemm_kernelIdidPKPdS2_S4_EEvT0_S5_S5_T1_bT2_lS5_S5_lbT3_lS5_S5_lS6_T4_lS5_S5_l
		.amdhsa_group_segment_fixed_size 0
		.amdhsa_private_segment_fixed_size 0
		.amdhsa_kernarg_size 400
		.amdhsa_user_sgpr_count 6
		.amdhsa_user_sgpr_private_segment_buffer 1
		.amdhsa_user_sgpr_dispatch_ptr 0
		.amdhsa_user_sgpr_queue_ptr 0
		.amdhsa_user_sgpr_kernarg_segment_ptr 1
		.amdhsa_user_sgpr_dispatch_id 0
		.amdhsa_user_sgpr_flat_scratch_init 0
		.amdhsa_user_sgpr_kernarg_preload_length 0
		.amdhsa_user_sgpr_kernarg_preload_offset 0
		.amdhsa_user_sgpr_private_segment_size 0
		.amdhsa_uses_dynamic_stack 0
		.amdhsa_system_sgpr_private_segment_wavefront_offset 0
		.amdhsa_system_sgpr_workgroup_id_x 1
		.amdhsa_system_sgpr_workgroup_id_y 1
		.amdhsa_system_sgpr_workgroup_id_z 1
		.amdhsa_system_sgpr_workgroup_info 0
		.amdhsa_system_vgpr_workitem_id 1
		.amdhsa_next_free_vgpr 14
		.amdhsa_next_free_sgpr 28
		.amdhsa_accum_offset 16
		.amdhsa_reserve_vcc 1
		.amdhsa_reserve_flat_scratch 0
		.amdhsa_float_round_mode_32 0
		.amdhsa_float_round_mode_16_64 0
		.amdhsa_float_denorm_mode_32 3
		.amdhsa_float_denorm_mode_16_64 3
		.amdhsa_dx10_clamp 1
		.amdhsa_ieee_mode 1
		.amdhsa_fp16_overflow 0
		.amdhsa_tg_split 0
		.amdhsa_exception_fp_ieee_invalid_op 0
		.amdhsa_exception_fp_denorm_src 0
		.amdhsa_exception_fp_ieee_div_zero 0
		.amdhsa_exception_fp_ieee_overflow 0
		.amdhsa_exception_fp_ieee_underflow 0
		.amdhsa_exception_fp_ieee_inexact 0
		.amdhsa_exception_int_div_zero 0
	.end_amdhsa_kernel
	.section	.text._ZN9rocsolver6v33100L11gemm_kernelIdidPKPdS2_S4_EEvT0_S5_S5_T1_bT2_lS5_S5_lbT3_lS5_S5_lS6_T4_lS5_S5_l,"axG",@progbits,_ZN9rocsolver6v33100L11gemm_kernelIdidPKPdS2_S4_EEvT0_S5_S5_T1_bT2_lS5_S5_lbT3_lS5_S5_lS6_T4_lS5_S5_l,comdat
.Lfunc_end16:
	.size	_ZN9rocsolver6v33100L11gemm_kernelIdidPKPdS2_S4_EEvT0_S5_S5_T1_bT2_lS5_S5_lbT3_lS5_S5_lS6_T4_lS5_S5_l, .Lfunc_end16-_ZN9rocsolver6v33100L11gemm_kernelIdidPKPdS2_S4_EEvT0_S5_S5_T1_bT2_lS5_S5_lbT3_lS5_S5_lS6_T4_lS5_S5_l
                                        ; -- End function
	.section	.AMDGPU.csdata,"",@progbits
; Kernel info:
; codeLenInByte = 524
; NumSgprs: 32
; NumVgprs: 14
; NumAgprs: 0
; TotalNumVgprs: 14
; ScratchSize: 0
; MemoryBound: 0
; FloatMode: 240
; IeeeMode: 1
; LDSByteSize: 0 bytes/workgroup (compile time only)
; SGPRBlocks: 3
; VGPRBlocks: 1
; NumSGPRsForWavesPerEU: 32
; NumVGPRsForWavesPerEU: 14
; AccumOffset: 16
; Occupancy: 8
; WaveLimiterHint : 1
; COMPUTE_PGM_RSRC2:SCRATCH_EN: 0
; COMPUTE_PGM_RSRC2:USER_SGPR: 6
; COMPUTE_PGM_RSRC2:TRAP_HANDLER: 0
; COMPUTE_PGM_RSRC2:TGID_X_EN: 1
; COMPUTE_PGM_RSRC2:TGID_Y_EN: 1
; COMPUTE_PGM_RSRC2:TGID_Z_EN: 1
; COMPUTE_PGM_RSRC2:TIDIG_COMP_CNT: 1
; COMPUTE_PGM_RSRC3_GFX90A:ACCUM_OFFSET: 3
; COMPUTE_PGM_RSRC3_GFX90A:TG_SPLIT: 0
	.section	.text._ZN9rocsolver6v33100L16mfma_gemm_kernelIdiPKdPKPdS6_S4_EEv18rocblas_operation_S7_T0_S8_S8_T1_T2_lS8_S8_lT3_lS8_S8_lS9_T4_lS8_S8_l,"axG",@progbits,_ZN9rocsolver6v33100L16mfma_gemm_kernelIdiPKdPKPdS6_S4_EEv18rocblas_operation_S7_T0_S8_S8_T1_T2_lS8_S8_lT3_lS8_S8_lS9_T4_lS8_S8_l,comdat
	.globl	_ZN9rocsolver6v33100L16mfma_gemm_kernelIdiPKdPKPdS6_S4_EEv18rocblas_operation_S7_T0_S8_S8_T1_T2_lS8_S8_lT3_lS8_S8_lS9_T4_lS8_S8_l ; -- Begin function _ZN9rocsolver6v33100L16mfma_gemm_kernelIdiPKdPKPdS6_S4_EEv18rocblas_operation_S7_T0_S8_S8_T1_T2_lS8_S8_lT3_lS8_S8_lS9_T4_lS8_S8_l
	.p2align	8
	.type	_ZN9rocsolver6v33100L16mfma_gemm_kernelIdiPKdPKPdS6_S4_EEv18rocblas_operation_S7_T0_S8_S8_T1_T2_lS8_S8_lT3_lS8_S8_lS9_T4_lS8_S8_l,@function
_ZN9rocsolver6v33100L16mfma_gemm_kernelIdiPKdPKPdS6_S4_EEv18rocblas_operation_S7_T0_S8_S8_T1_T2_lS8_S8_lT3_lS8_S8_lS9_T4_lS8_S8_l: ; @_ZN9rocsolver6v33100L16mfma_gemm_kernelIdiPKdPKPdS6_S4_EEv18rocblas_operation_S7_T0_S8_S8_T1_T2_lS8_S8_lT3_lS8_S8_lS9_T4_lS8_S8_l
; %bb.0:
	s_load_dword s0, s[4:5], 0x94
	s_load_dwordx4 s[16:19], s[4:5], 0x0
	v_and_b32_e32 v22, 0x3ff, v0
	v_bfe_u32 v0, v0, 10, 10
	v_lshrrev_b32_e32 v1, 6, v22
	s_waitcnt lgkmcnt(0)
	s_lshr_b32 s1, s0, 16
	s_bfe_u32 s0, s0, 0xa0006
	s_mul_i32 s7, s7, s1
	s_mul_i32 s6, s6, s0
	v_add_u32_e32 v0, s7, v0
	v_add_lshl_u32 v23, s6, v1, 4
	v_lshlrev_b32_e32 v24, 4, v0
	v_cmp_gt_i32_e32 vcc, s18, v23
	v_cmp_gt_i32_e64 s[0:1], s19, v24
	s_and_b64 s[0:1], vcc, s[0:1]
	s_and_saveexec_b64 s[2:3], s[0:1]
	s_cbranch_execz .LBB17_36
; %bb.1:
	s_ashr_i32 s6, s18, 31
	s_lshr_b32 s6, s6, 28
	s_add_i32 s6, s18, s6
	s_and_b32 s6, s6, -16
	s_load_dword s28, s[4:5], 0x10
	s_load_dwordx4 s[0:3], s[4:5], 0x18
	s_load_dwordx2 s[26:27], s[4:5], 0x70
	s_load_dwordx4 s[12:15], s[4:5], 0x60
	s_sub_i32 s6, s18, s6
	v_mov_b32_e32 v1, s6
	s_ashr_i32 s6, s19, 31
	s_lshr_b32 s6, s6, 28
	v_add_u32_e32 v0, 16, v23
	s_add_i32 s6, s19, s6
	v_cmp_lt_i32_e32 vcc, s18, v0
	v_add_u32_e32 v0, 16, v24
	s_and_b32 s6, s6, -16
	v_cndmask_b32_e32 v20, 16, v1, vcc
	s_sub_i32 s6, s19, s6
	v_cmp_lt_i32_e32 vcc, s19, v0
	s_waitcnt lgkmcnt(0)
	s_load_dwordx2 s[18:19], s[0:1], 0x0
	s_load_dwordx2 s[24:25], s[12:13], 0x0
	v_mov_b32_e32 v1, s6
	v_cndmask_b32_e32 v25, 16, v1, vcc
	s_ashr_i32 s9, s8, 31
	v_bfe_u32 v26, v22, 2, 4
	v_pk_mov_b32 v[6:7], 0, 0
	v_and_b32_e32 v21, 3, v22
	s_cmp_lt_i32 s28, 1
	v_cmp_lt_i32_e64 s[0:1], v26, v25
	v_mbcnt_lo_u32_b32 v27, -1, 0
	v_pk_mov_b32 v[4:5], v[6:7], v[6:7] op_sel:[0,1]
	v_pk_mov_b32 v[2:3], v[6:7], v[6:7] op_sel:[0,1]
	;; [unrolled: 1-line block ×3, first 2 shown]
	s_cbranch_scc1 .LBB17_28
; %bb.2:
	s_lshl_b64 s[6:7], s[8:9], 3
	s_add_u32 s2, s2, s6
	s_addc_u32 s3, s3, s7
	s_load_dwordx4 s[20:23], s[4:5], 0x28
	s_load_dwordx2 s[10:11], s[2:3], 0x0
	s_load_dwordx4 s[36:39], s[4:5], 0x40
	s_load_dwordx2 s[34:35], s[4:5], 0x50
	v_and_b32_e32 v2, 63, v22
	s_waitcnt lgkmcnt(0)
	s_lshl_b64 s[2:3], s[20:21], 3
	s_add_u32 s10, s10, s2
	s_addc_u32 s11, s11, s3
	s_add_u32 s2, s36, s6
	s_addc_u32 s3, s37, s7
	s_load_dwordx2 s[2:3], s[2:3], 0x0
	s_lshl_b64 s[6:7], s[38:39], 3
	v_mov_b32_e32 v3, s11
	v_lshrrev_b32_e32 v32, 4, v2
	s_waitcnt lgkmcnt(0)
	s_add_u32 s2, s2, s6
	s_addc_u32 s3, s3, s7
	s_cmpk_lg_i32 s16, 0x6f
	s_cselect_b64 s[12:13], -1, 0
	s_cmpk_eq_i32 s16, 0x6f
	s_cselect_b32 s6, s22, s23
	v_mul_lo_u32 v0, v23, s6
	s_cmpk_lg_i32 s17, 0x6f
	v_ashrrev_i32_e32 v1, 31, v0
	s_cselect_b64 s[20:21], -1, 0
	s_cmpk_eq_i32 s17, 0x6f
	v_lshlrev_b64 v[0:1], 3, v[0:1]
	s_cselect_b32 s6, s35, s34
	v_add_co_u32_e32 v28, vcc, s10, v0
	v_mul_lo_u32 v0, v24, s6
	v_addc_co_u32_e32 v29, vcc, v3, v1, vcc
	v_ashrrev_i32_e32 v1, 31, v0
	v_lshlrev_b64 v[0:1], 3, v[0:1]
	v_mov_b32_e32 v3, s3
	v_add_co_u32_e32 v30, vcc, s2, v0
	v_addc_co_u32_e32 v31, vcc, v3, v1, vcc
	v_and_b32_e32 v1, 15, v22
	v_mul_lo_u32 v0, v1, s22
	v_lshl_or_b32 v3, v1, 2, v32
	v_mul_lo_u32 v2, v1, s34
	v_mad_u64_u32 v[8:9], s[16:17], s23, v32, v[0:1]
	v_mul_lo_u32 v0, s22, v21
	v_mad_u64_u32 v[10:11], s[16:17], v26, s23, v[0:1]
	;; [unrolled: 2-line block ×3, first 2 shown]
	v_mbcnt_hi_u32_b32 v2, -1, v27
	v_cmp_lt_i32_e64 s[6:7], v1, v20
	v_cmp_lt_i32_e64 s[10:11], v1, v25
	v_mad_u64_u32 v[12:13], s[16:17], v26, s35, v[0:1]
	v_pk_mov_b32 v[0:1], 0, 0
	v_and_or_b32 v2, v2, 64, v3
	v_cmp_lt_i32_e64 s[2:3], v26, v20
	s_lshl_b32 s29, s23, 2
	s_lshl_b32 s30, s22, 2
	;; [unrolled: 1-line block ×4, first 2 shown]
	s_mov_b32 s34, 0
	v_lshlrev_b32_e32 v33, 2, v2
	v_pk_mov_b32 v[2:3], v[0:1], v[0:1] op_sel:[0,1]
	v_pk_mov_b32 v[4:5], v[0:1], v[0:1] op_sel:[0,1]
	v_pk_mov_b32 v[6:7], v[0:1], v[0:1] op_sel:[0,1]
	s_branch .LBB17_6
.LBB17_3:                               ;   in Loop: Header=BB17_6 Depth=1
	s_or_b64 exec, exec, s[22:23]
.LBB17_4:                               ;   in Loop: Header=BB17_6 Depth=1
	s_or_b64 exec, exec, s[16:17]
	s_waitcnt vmcnt(0)
	ds_bpermute_b32 v18, v33, v18
	ds_bpermute_b32 v19, v33, v19
.LBB17_5:                               ;   in Loop: Header=BB17_6 Depth=1
	s_waitcnt vmcnt(0) lgkmcnt(0)
	v_mfma_f64_16x16x4f64 v[0:7], v[16:17], v[18:19], v[0:7]
	s_add_i32 s34, s34, 4
	s_cmp_ge_i32 s34, s28
	v_add_u32_e32 v8, s29, v8
	v_add_u32_e32 v10, s30, v10
	;; [unrolled: 1-line block ×4, first 2 shown]
	s_cbranch_scc1 .LBB17_28
.LBB17_6:                               ; =>This Inner Loop Header: Depth=1
	s_and_b64 vcc, exec, s[12:13]
	s_cbranch_vccz .LBB17_18
; %bb.7:                                ;   in Loop: Header=BB17_6 Depth=1
	v_pk_mov_b32 v[16:17], 0, 0
	s_and_saveexec_b64 s[16:17], s[2:3]
	s_cbranch_execz .LBB17_11
; %bb.8:                                ;   in Loop: Header=BB17_6 Depth=1
	v_add_u32_e32 v9, s34, v21
	v_cmp_gt_i32_e32 vcc, s28, v9
	v_pk_mov_b32 v[16:17], 0, 0
	s_and_saveexec_b64 s[22:23], vcc
	s_cbranch_execz .LBB17_10
; %bb.9:                                ;   in Loop: Header=BB17_6 Depth=1
	v_ashrrev_i32_e32 v11, 31, v10
	v_lshlrev_b64 v[16:17], 3, v[10:11]
	v_add_co_u32_e32 v16, vcc, v28, v16
	v_addc_co_u32_e32 v17, vcc, v29, v17, vcc
	global_load_dwordx2 v[16:17], v[16:17], off
.LBB17_10:                              ;   in Loop: Header=BB17_6 Depth=1
	s_or_b64 exec, exec, s[22:23]
.LBB17_11:                              ;   in Loop: Header=BB17_6 Depth=1
	s_or_b64 exec, exec, s[16:17]
	s_waitcnt vmcnt(0)
	ds_bpermute_b32 v16, v33, v16
	ds_bpermute_b32 v17, v33, v17
.LBB17_12:                              ;   in Loop: Header=BB17_6 Depth=1
	s_and_b64 vcc, exec, s[20:21]
	s_cbranch_vccz .LBB17_24
.LBB17_13:                              ;   in Loop: Header=BB17_6 Depth=1
	v_pk_mov_b32 v[18:19], 0, 0
	s_and_saveexec_b64 s[16:17], s[10:11]
	s_cbranch_execz .LBB17_17
; %bb.14:                               ;   in Loop: Header=BB17_6 Depth=1
	v_add_u32_e32 v9, s34, v32
	v_cmp_gt_i32_e32 vcc, s28, v9
	v_pk_mov_b32 v[18:19], 0, 0
	s_and_saveexec_b64 s[22:23], vcc
	s_cbranch_execz .LBB17_16
; %bb.15:                               ;   in Loop: Header=BB17_6 Depth=1
	v_ashrrev_i32_e32 v15, 31, v14
	v_lshlrev_b64 v[18:19], 3, v[14:15]
	v_add_co_u32_e32 v18, vcc, v30, v18
	v_addc_co_u32_e32 v19, vcc, v31, v19, vcc
	global_load_dwordx2 v[18:19], v[18:19], off
.LBB17_16:                              ;   in Loop: Header=BB17_6 Depth=1
	s_or_b64 exec, exec, s[22:23]
.LBB17_17:                              ;   in Loop: Header=BB17_6 Depth=1
	s_or_b64 exec, exec, s[16:17]
	s_cbranch_execnz .LBB17_5
	s_branch .LBB17_25
.LBB17_18:                              ;   in Loop: Header=BB17_6 Depth=1
                                        ; implicit-def: $vgpr16_vgpr17
	s_cbranch_execz .LBB17_12
; %bb.19:                               ;   in Loop: Header=BB17_6 Depth=1
	s_waitcnt lgkmcnt(0)
	v_pk_mov_b32 v[16:17], 0, 0
	s_and_saveexec_b64 s[16:17], s[6:7]
	s_cbranch_execz .LBB17_23
; %bb.20:                               ;   in Loop: Header=BB17_6 Depth=1
	v_add_u32_e32 v9, s34, v32
	v_cmp_gt_i32_e32 vcc, s28, v9
	v_pk_mov_b32 v[16:17], 0, 0
	s_and_saveexec_b64 s[22:23], vcc
	s_cbranch_execz .LBB17_22
; %bb.21:                               ;   in Loop: Header=BB17_6 Depth=1
	v_ashrrev_i32_e32 v9, 31, v8
	v_lshlrev_b64 v[16:17], 3, v[8:9]
	v_add_co_u32_e32 v16, vcc, v28, v16
	v_addc_co_u32_e32 v17, vcc, v29, v17, vcc
	global_load_dwordx2 v[16:17], v[16:17], off
.LBB17_22:                              ;   in Loop: Header=BB17_6 Depth=1
	s_or_b64 exec, exec, s[22:23]
.LBB17_23:                              ;   in Loop: Header=BB17_6 Depth=1
	s_or_b64 exec, exec, s[16:17]
	s_and_b64 vcc, exec, s[20:21]
	s_cbranch_vccnz .LBB17_13
.LBB17_24:                              ;   in Loop: Header=BB17_6 Depth=1
                                        ; implicit-def: $vgpr18_vgpr19
.LBB17_25:                              ;   in Loop: Header=BB17_6 Depth=1
	s_waitcnt vmcnt(0)
	v_pk_mov_b32 v[18:19], 0, 0
	s_and_saveexec_b64 s[16:17], s[0:1]
	s_cbranch_execz .LBB17_4
; %bb.26:                               ;   in Loop: Header=BB17_6 Depth=1
	v_add_u32_e32 v9, s34, v21
	v_cmp_gt_i32_e32 vcc, s28, v9
	v_pk_mov_b32 v[18:19], 0, 0
	s_and_saveexec_b64 s[22:23], vcc
	s_cbranch_execz .LBB17_3
; %bb.27:                               ;   in Loop: Header=BB17_6 Depth=1
	v_ashrrev_i32_e32 v13, 31, v12
	v_lshlrev_b64 v[18:19], 3, v[12:13]
	v_add_co_u32_e32 v18, vcc, v30, v18
	v_addc_co_u32_e32 v19, vcc, v31, v19, vcc
	global_load_dwordx2 v[18:19], v[18:19], off
	s_branch .LBB17_3
.LBB17_28:
	s_load_dwordx4 s[4:7], s[4:5], 0x78
	s_waitcnt lgkmcnt(0)
	s_mul_i32 s1, s8, s7
	s_mul_hi_u32 s2, s8, s6
	s_mul_i32 s3, s9, s6
	s_add_i32 s1, s2, s1
	s_mul_i32 s0, s8, s6
	s_add_i32 s1, s1, s3
	s_lshl_b64 s[0:1], s[0:1], 3
	s_add_u32 s2, s14, s0
	s_addc_u32 s3, s15, s1
	s_lshl_b64 s[0:1], s[26:27], 3
	s_add_u32 s2, s2, s0
	v_mul_lo_u32 v8, v23, s4
	s_addc_u32 s3, s3, s1
	v_mad_u64_u32 v[8:9], s[0:1], v24, s5, v[8:9]
	v_ashrrev_i32_e32 v9, 31, v8
	v_lshlrev_b64 v[8:9], 3, v[8:9]
	v_mov_b32_e32 v11, s3
	v_add_co_u32_e32 v10, vcc, s2, v8
	v_addc_co_u32_e32 v11, vcc, v11, v9, vcc
	v_lshlrev_b32_e32 v8, 4, v22
	v_mbcnt_hi_u32_b32 v9, -1, v27
	v_and_b32_e32 v8, 48, v8
	v_and_b32_e32 v9, 64, v9
	v_or3_b32 v8, v8, v9, v26
	v_lshlrev_b32_e32 v12, 2, v8
	ds_bpermute_b32 v8, v12, v0
	ds_bpermute_b32 v9, v12, v1
	v_cmp_lt_i32_e32 vcc, v26, v25
	v_cmp_lt_i32_e64 s[0:1], v21, v20
	v_mul_lo_u32 v0, v26, s5
	s_and_b64 s[0:1], vcc, s[0:1]
	s_and_saveexec_b64 s[2:3], s[0:1]
	s_cbranch_execz .LBB17_30
; %bb.29:
	v_mad_u64_u32 v[14:15], s[0:1], v21, s4, v[0:1]
	v_ashrrev_i32_e32 v15, 31, v14
	v_lshlrev_b64 v[14:15], 3, v[14:15]
	v_add_co_u32_e64 v14, s[0:1], v10, v14
	v_addc_co_u32_e64 v15, s[0:1], v11, v15, s[0:1]
	global_load_dwordx2 v[16:17], v[14:15], off
	s_waitcnt vmcnt(0)
	v_mul_f64 v[16:17], s[24:25], v[16:17]
	s_waitcnt lgkmcnt(0)
	v_fmac_f64_e32 v[16:17], s[18:19], v[8:9]
	global_store_dwordx2 v[14:15], v[16:17], off
.LBB17_30:
	s_or_b64 exec, exec, s[2:3]
	ds_bpermute_b32 v2, v12, v2
	ds_bpermute_b32 v3, v12, v3
	v_or_b32_e32 v1, 4, v21
	v_cmp_lt_i32_e64 s[0:1], v1, v20
	s_and_b64 s[0:1], vcc, s[0:1]
	s_and_saveexec_b64 s[2:3], s[0:1]
	s_cbranch_execz .LBB17_32
; %bb.31:
	s_waitcnt lgkmcnt(2)
	v_mad_u64_u32 v[8:9], s[0:1], v1, s4, v[0:1]
	v_ashrrev_i32_e32 v9, 31, v8
	v_lshlrev_b64 v[8:9], 3, v[8:9]
	v_add_co_u32_e64 v8, s[0:1], v10, v8
	v_addc_co_u32_e64 v9, s[0:1], v11, v9, s[0:1]
	global_load_dwordx2 v[14:15], v[8:9], off
	s_waitcnt vmcnt(0)
	v_mul_f64 v[14:15], s[24:25], v[14:15]
	s_waitcnt lgkmcnt(0)
	v_fmac_f64_e32 v[14:15], s[18:19], v[2:3]
	global_store_dwordx2 v[8:9], v[14:15], off
.LBB17_32:
	s_or_b64 exec, exec, s[2:3]
	s_waitcnt lgkmcnt(1)
	ds_bpermute_b32 v2, v12, v4
	s_waitcnt lgkmcnt(1)
	ds_bpermute_b32 v3, v12, v5
	v_or_b32_e32 v1, 8, v21
	v_cmp_lt_i32_e64 s[0:1], v1, v20
	s_and_b64 s[0:1], vcc, s[0:1]
	s_and_saveexec_b64 s[2:3], s[0:1]
	s_cbranch_execz .LBB17_34
; %bb.33:
	v_mad_u64_u32 v[4:5], s[0:1], v1, s4, v[0:1]
	v_ashrrev_i32_e32 v5, 31, v4
	v_lshlrev_b64 v[4:5], 3, v[4:5]
	v_add_co_u32_e64 v4, s[0:1], v10, v4
	v_addc_co_u32_e64 v5, s[0:1], v11, v5, s[0:1]
	global_load_dwordx2 v[8:9], v[4:5], off
	s_waitcnt vmcnt(0)
	v_mul_f64 v[8:9], s[24:25], v[8:9]
	s_waitcnt lgkmcnt(0)
	v_fmac_f64_e32 v[8:9], s[18:19], v[2:3]
	global_store_dwordx2 v[4:5], v[8:9], off
.LBB17_34:
	s_or_b64 exec, exec, s[2:3]
	s_waitcnt lgkmcnt(1)
	ds_bpermute_b32 v2, v12, v6
	s_waitcnt lgkmcnt(1)
	ds_bpermute_b32 v3, v12, v7
	v_or_b32_e32 v1, 12, v21
	v_cmp_lt_i32_e64 s[0:1], v1, v20
	s_and_b64 s[0:1], vcc, s[0:1]
	s_and_b64 exec, exec, s[0:1]
	s_cbranch_execz .LBB17_36
; %bb.35:
	v_mad_u64_u32 v[0:1], s[0:1], v1, s4, v[0:1]
	v_ashrrev_i32_e32 v1, 31, v0
	v_lshlrev_b64 v[0:1], 3, v[0:1]
	v_add_co_u32_e32 v0, vcc, v10, v0
	v_addc_co_u32_e32 v1, vcc, v11, v1, vcc
	global_load_dwordx2 v[4:5], v[0:1], off
	s_waitcnt vmcnt(0)
	v_mul_f64 v[4:5], s[24:25], v[4:5]
	s_waitcnt lgkmcnt(0)
	v_fmac_f64_e32 v[4:5], s[18:19], v[2:3]
	global_store_dwordx2 v[0:1], v[4:5], off
.LBB17_36:
	s_endpgm
	.section	.rodata,"a",@progbits
	.p2align	6, 0x0
	.amdhsa_kernel _ZN9rocsolver6v33100L16mfma_gemm_kernelIdiPKdPKPdS6_S4_EEv18rocblas_operation_S7_T0_S8_S8_T1_T2_lS8_S8_lT3_lS8_S8_lS9_T4_lS8_S8_l
		.amdhsa_group_segment_fixed_size 0
		.amdhsa_private_segment_fixed_size 0
		.amdhsa_kernarg_size 392
		.amdhsa_user_sgpr_count 6
		.amdhsa_user_sgpr_private_segment_buffer 1
		.amdhsa_user_sgpr_dispatch_ptr 0
		.amdhsa_user_sgpr_queue_ptr 0
		.amdhsa_user_sgpr_kernarg_segment_ptr 1
		.amdhsa_user_sgpr_dispatch_id 0
		.amdhsa_user_sgpr_flat_scratch_init 0
		.amdhsa_user_sgpr_kernarg_preload_length 0
		.amdhsa_user_sgpr_kernarg_preload_offset 0
		.amdhsa_user_sgpr_private_segment_size 0
		.amdhsa_uses_dynamic_stack 0
		.amdhsa_system_sgpr_private_segment_wavefront_offset 0
		.amdhsa_system_sgpr_workgroup_id_x 1
		.amdhsa_system_sgpr_workgroup_id_y 1
		.amdhsa_system_sgpr_workgroup_id_z 1
		.amdhsa_system_sgpr_workgroup_info 0
		.amdhsa_system_vgpr_workitem_id 1
		.amdhsa_next_free_vgpr 34
		.amdhsa_next_free_sgpr 40
		.amdhsa_accum_offset 36
		.amdhsa_reserve_vcc 1
		.amdhsa_reserve_flat_scratch 0
		.amdhsa_float_round_mode_32 0
		.amdhsa_float_round_mode_16_64 0
		.amdhsa_float_denorm_mode_32 3
		.amdhsa_float_denorm_mode_16_64 3
		.amdhsa_dx10_clamp 1
		.amdhsa_ieee_mode 1
		.amdhsa_fp16_overflow 0
		.amdhsa_tg_split 0
		.amdhsa_exception_fp_ieee_invalid_op 0
		.amdhsa_exception_fp_denorm_src 0
		.amdhsa_exception_fp_ieee_div_zero 0
		.amdhsa_exception_fp_ieee_overflow 0
		.amdhsa_exception_fp_ieee_underflow 0
		.amdhsa_exception_fp_ieee_inexact 0
		.amdhsa_exception_int_div_zero 0
	.end_amdhsa_kernel
	.section	.text._ZN9rocsolver6v33100L16mfma_gemm_kernelIdiPKdPKPdS6_S4_EEv18rocblas_operation_S7_T0_S8_S8_T1_T2_lS8_S8_lT3_lS8_S8_lS9_T4_lS8_S8_l,"axG",@progbits,_ZN9rocsolver6v33100L16mfma_gemm_kernelIdiPKdPKPdS6_S4_EEv18rocblas_operation_S7_T0_S8_S8_T1_T2_lS8_S8_lT3_lS8_S8_lS9_T4_lS8_S8_l,comdat
.Lfunc_end17:
	.size	_ZN9rocsolver6v33100L16mfma_gemm_kernelIdiPKdPKPdS6_S4_EEv18rocblas_operation_S7_T0_S8_S8_T1_T2_lS8_S8_lT3_lS8_S8_lS9_T4_lS8_S8_l, .Lfunc_end17-_ZN9rocsolver6v33100L16mfma_gemm_kernelIdiPKdPKPdS6_S4_EEv18rocblas_operation_S7_T0_S8_S8_T1_T2_lS8_S8_lT3_lS8_S8_lS9_T4_lS8_S8_l
                                        ; -- End function
	.section	.AMDGPU.csdata,"",@progbits
; Kernel info:
; codeLenInByte = 1716
; NumSgprs: 44
; NumVgprs: 34
; NumAgprs: 0
; TotalNumVgprs: 34
; ScratchSize: 0
; MemoryBound: 0
; FloatMode: 240
; IeeeMode: 1
; LDSByteSize: 0 bytes/workgroup (compile time only)
; SGPRBlocks: 5
; VGPRBlocks: 4
; NumSGPRsForWavesPerEU: 44
; NumVGPRsForWavesPerEU: 34
; AccumOffset: 36
; Occupancy: 8
; WaveLimiterHint : 1
; COMPUTE_PGM_RSRC2:SCRATCH_EN: 0
; COMPUTE_PGM_RSRC2:USER_SGPR: 6
; COMPUTE_PGM_RSRC2:TRAP_HANDLER: 0
; COMPUTE_PGM_RSRC2:TGID_X_EN: 1
; COMPUTE_PGM_RSRC2:TGID_Y_EN: 1
; COMPUTE_PGM_RSRC2:TGID_Z_EN: 1
; COMPUTE_PGM_RSRC2:TIDIG_COMP_CNT: 1
; COMPUTE_PGM_RSRC3_GFX90A:ACCUM_OFFSET: 8
; COMPUTE_PGM_RSRC3_GFX90A:TG_SPLIT: 0
	.section	.text._ZN9rocsolver6v33100L16mfma_gemm_kernelIdidPKPdS4_S2_EEv18rocblas_operation_S5_T0_S6_S6_T1_T2_lS6_S6_lT3_lS6_S6_lS7_T4_lS6_S6_l,"axG",@progbits,_ZN9rocsolver6v33100L16mfma_gemm_kernelIdidPKPdS4_S2_EEv18rocblas_operation_S5_T0_S6_S6_T1_T2_lS6_S6_lT3_lS6_S6_lS7_T4_lS6_S6_l,comdat
	.globl	_ZN9rocsolver6v33100L16mfma_gemm_kernelIdidPKPdS4_S2_EEv18rocblas_operation_S5_T0_S6_S6_T1_T2_lS6_S6_lT3_lS6_S6_lS7_T4_lS6_S6_l ; -- Begin function _ZN9rocsolver6v33100L16mfma_gemm_kernelIdidPKPdS4_S2_EEv18rocblas_operation_S5_T0_S6_S6_T1_T2_lS6_S6_lT3_lS6_S6_lS7_T4_lS6_S6_l
	.p2align	8
	.type	_ZN9rocsolver6v33100L16mfma_gemm_kernelIdidPKPdS4_S2_EEv18rocblas_operation_S5_T0_S6_S6_T1_T2_lS6_S6_lT3_lS6_S6_lS7_T4_lS6_S6_l,@function
_ZN9rocsolver6v33100L16mfma_gemm_kernelIdidPKPdS4_S2_EEv18rocblas_operation_S5_T0_S6_S6_T1_T2_lS6_S6_lT3_lS6_S6_lS7_T4_lS6_S6_l: ; @_ZN9rocsolver6v33100L16mfma_gemm_kernelIdidPKPdS4_S2_EEv18rocblas_operation_S5_T0_S6_S6_T1_T2_lS6_S6_lT3_lS6_S6_lS7_T4_lS6_S6_l
; %bb.0:
	s_load_dword s0, s[4:5], 0x94
	s_load_dwordx4 s[12:15], s[4:5], 0x0
	v_and_b32_e32 v22, 0x3ff, v0
	v_bfe_u32 v0, v0, 10, 10
	v_lshrrev_b32_e32 v1, 6, v22
	s_waitcnt lgkmcnt(0)
	s_lshr_b32 s1, s0, 16
	s_bfe_u32 s0, s0, 0xa0006
	s_mul_i32 s7, s7, s1
	s_mul_i32 s6, s6, s0
	v_add_u32_e32 v0, s7, v0
	v_add_lshl_u32 v23, s6, v1, 4
	v_lshlrev_b32_e32 v24, 4, v0
	v_cmp_gt_i32_e32 vcc, s14, v23
	v_cmp_gt_i32_e64 s[0:1], s15, v24
	s_and_b64 s[0:1], vcc, s[0:1]
	s_and_saveexec_b64 s[2:3], s[0:1]
	s_cbranch_execz .LBB18_36
; %bb.1:
	s_ashr_i32 s0, s14, 31
	s_lshr_b32 s0, s0, 28
	s_add_i32 s0, s14, s0
	s_and_b32 s0, s0, -16
	s_sub_i32 s0, s14, s0
	v_mov_b32_e32 v1, s0
	s_ashr_i32 s0, s15, 31
	s_lshr_b32 s0, s0, 28
	s_add_i32 s0, s15, s0
	v_add_u32_e32 v0, 16, v23
	s_and_b32 s0, s0, -16
	s_load_dword s24, s[4:5], 0x10
	s_load_dwordx4 s[20:23], s[4:5], 0x18
	s_load_dwordx2 s[2:3], s[4:5], 0x28
	v_cmp_lt_i32_e32 vcc, s14, v0
	v_add_u32_e32 v0, 16, v24
	s_sub_i32 s0, s15, s0
	v_cndmask_b32_e32 v20, 16, v1, vcc
	v_mov_b32_e32 v1, s0
	v_cmp_lt_i32_e32 vcc, s15, v0
	v_cndmask_b32_e32 v25, 16, v1, vcc
	s_ashr_i32 s9, s8, 31
	v_bfe_u32 v26, v22, 2, 4
	v_pk_mov_b32 v[6:7], 0, 0
	v_and_b32_e32 v21, 3, v22
	s_waitcnt lgkmcnt(0)
	s_cmp_lt_i32 s24, 1
	v_cmp_lt_i32_e64 s[0:1], v26, v25
	v_mbcnt_lo_u32_b32 v27, -1, 0
	v_pk_mov_b32 v[4:5], v[6:7], v[6:7] op_sel:[0,1]
	v_pk_mov_b32 v[2:3], v[6:7], v[6:7] op_sel:[0,1]
	;; [unrolled: 1-line block ×3, first 2 shown]
	s_cbranch_scc1 .LBB18_28
; %bb.2:
	s_lshl_b64 s[6:7], s[8:9], 3
	s_add_u32 s10, s22, s6
	s_addc_u32 s11, s23, s7
	s_load_dwordx2 s[14:15], s[10:11], 0x0
	s_load_dwordx4 s[16:19], s[4:5], 0x40
	s_load_dwordx2 s[26:27], s[4:5], 0x30
	s_lshl_b64 s[2:3], s[2:3], 3
	s_load_dwordx2 s[28:29], s[4:5], 0x50
	s_waitcnt lgkmcnt(0)
	s_add_u32 s10, s14, s2
	s_addc_u32 s11, s15, s3
	s_add_u32 s2, s16, s6
	s_addc_u32 s3, s17, s7
	s_load_dwordx2 s[2:3], s[2:3], 0x0
	s_lshl_b64 s[6:7], s[18:19], 3
	v_mov_b32_e32 v3, s11
	v_and_b32_e32 v2, 63, v22
	v_lshrrev_b32_e32 v32, 4, v2
	s_waitcnt lgkmcnt(0)
	s_add_u32 s2, s2, s6
	s_addc_u32 s3, s3, s7
	s_cmpk_lg_i32 s12, 0x6f
	s_cselect_b64 s[14:15], -1, 0
	s_cmpk_eq_i32 s12, 0x6f
	s_cselect_b32 s6, s26, s27
	v_mul_lo_u32 v0, v23, s6
	s_cmpk_lg_i32 s13, 0x6f
	v_ashrrev_i32_e32 v1, 31, v0
	s_cselect_b64 s[16:17], -1, 0
	s_cmpk_eq_i32 s13, 0x6f
	v_lshlrev_b64 v[0:1], 3, v[0:1]
	s_cselect_b32 s6, s29, s28
	v_add_co_u32_e32 v28, vcc, s10, v0
	v_mul_lo_u32 v0, v24, s6
	v_addc_co_u32_e32 v29, vcc, v3, v1, vcc
	v_ashrrev_i32_e32 v1, 31, v0
	v_lshlrev_b64 v[0:1], 3, v[0:1]
	v_mov_b32_e32 v3, s3
	v_add_co_u32_e32 v30, vcc, s2, v0
	v_addc_co_u32_e32 v31, vcc, v3, v1, vcc
	v_and_b32_e32 v1, 15, v22
	v_mul_lo_u32 v0, v1, s26
	v_lshl_or_b32 v3, v1, 2, v32
	v_mul_lo_u32 v2, v1, s28
	v_mad_u64_u32 v[8:9], s[12:13], s27, v32, v[0:1]
	v_mul_lo_u32 v0, s26, v21
	v_mad_u64_u32 v[10:11], s[12:13], v26, s27, v[0:1]
	;; [unrolled: 2-line block ×3, first 2 shown]
	v_mbcnt_hi_u32_b32 v2, -1, v27
	v_cmp_lt_i32_e64 s[6:7], v1, v20
	v_cmp_lt_i32_e64 s[10:11], v1, v25
	v_mad_u64_u32 v[12:13], s[12:13], v26, s29, v[0:1]
	v_pk_mov_b32 v[0:1], 0, 0
	v_and_or_b32 v2, v2, 64, v3
	v_cmp_lt_i32_e64 s[2:3], v26, v20
	s_lshl_b32 s22, s27, 2
	s_lshl_b32 s23, s26, 2
	;; [unrolled: 1-line block ×4, first 2 shown]
	s_mov_b32 s27, 0
	v_lshlrev_b32_e32 v33, 2, v2
	v_pk_mov_b32 v[2:3], v[0:1], v[0:1] op_sel:[0,1]
	v_pk_mov_b32 v[4:5], v[0:1], v[0:1] op_sel:[0,1]
	;; [unrolled: 1-line block ×3, first 2 shown]
	s_branch .LBB18_6
.LBB18_3:                               ;   in Loop: Header=BB18_6 Depth=1
	s_or_b64 exec, exec, s[18:19]
.LBB18_4:                               ;   in Loop: Header=BB18_6 Depth=1
	s_or_b64 exec, exec, s[12:13]
	s_waitcnt vmcnt(0)
	ds_bpermute_b32 v18, v33, v18
	ds_bpermute_b32 v19, v33, v19
.LBB18_5:                               ;   in Loop: Header=BB18_6 Depth=1
	s_waitcnt vmcnt(0) lgkmcnt(0)
	v_mfma_f64_16x16x4f64 v[0:7], v[16:17], v[18:19], v[0:7]
	s_add_i32 s27, s27, 4
	s_cmp_ge_i32 s27, s24
	v_add_u32_e32 v8, s22, v8
	v_add_u32_e32 v10, s23, v10
	;; [unrolled: 1-line block ×4, first 2 shown]
	s_cbranch_scc1 .LBB18_28
.LBB18_6:                               ; =>This Inner Loop Header: Depth=1
	s_and_b64 vcc, exec, s[14:15]
	s_cbranch_vccz .LBB18_18
; %bb.7:                                ;   in Loop: Header=BB18_6 Depth=1
	v_pk_mov_b32 v[16:17], 0, 0
	s_and_saveexec_b64 s[12:13], s[2:3]
	s_cbranch_execz .LBB18_11
; %bb.8:                                ;   in Loop: Header=BB18_6 Depth=1
	v_add_u32_e32 v9, s27, v21
	v_cmp_gt_i32_e32 vcc, s24, v9
	v_pk_mov_b32 v[16:17], 0, 0
	s_and_saveexec_b64 s[18:19], vcc
	s_cbranch_execz .LBB18_10
; %bb.9:                                ;   in Loop: Header=BB18_6 Depth=1
	v_ashrrev_i32_e32 v11, 31, v10
	v_lshlrev_b64 v[16:17], 3, v[10:11]
	v_add_co_u32_e32 v16, vcc, v28, v16
	v_addc_co_u32_e32 v17, vcc, v29, v17, vcc
	global_load_dwordx2 v[16:17], v[16:17], off
.LBB18_10:                              ;   in Loop: Header=BB18_6 Depth=1
	s_or_b64 exec, exec, s[18:19]
.LBB18_11:                              ;   in Loop: Header=BB18_6 Depth=1
	s_or_b64 exec, exec, s[12:13]
	s_waitcnt vmcnt(0)
	ds_bpermute_b32 v16, v33, v16
	ds_bpermute_b32 v17, v33, v17
.LBB18_12:                              ;   in Loop: Header=BB18_6 Depth=1
	s_and_b64 vcc, exec, s[16:17]
	s_cbranch_vccz .LBB18_24
.LBB18_13:                              ;   in Loop: Header=BB18_6 Depth=1
	v_pk_mov_b32 v[18:19], 0, 0
	s_and_saveexec_b64 s[12:13], s[10:11]
	s_cbranch_execz .LBB18_17
; %bb.14:                               ;   in Loop: Header=BB18_6 Depth=1
	v_add_u32_e32 v9, s27, v32
	v_cmp_gt_i32_e32 vcc, s24, v9
	v_pk_mov_b32 v[18:19], 0, 0
	s_and_saveexec_b64 s[18:19], vcc
	s_cbranch_execz .LBB18_16
; %bb.15:                               ;   in Loop: Header=BB18_6 Depth=1
	v_ashrrev_i32_e32 v15, 31, v14
	v_lshlrev_b64 v[18:19], 3, v[14:15]
	v_add_co_u32_e32 v18, vcc, v30, v18
	v_addc_co_u32_e32 v19, vcc, v31, v19, vcc
	global_load_dwordx2 v[18:19], v[18:19], off
.LBB18_16:                              ;   in Loop: Header=BB18_6 Depth=1
	s_or_b64 exec, exec, s[18:19]
.LBB18_17:                              ;   in Loop: Header=BB18_6 Depth=1
	s_or_b64 exec, exec, s[12:13]
	s_cbranch_execnz .LBB18_5
	s_branch .LBB18_25
.LBB18_18:                              ;   in Loop: Header=BB18_6 Depth=1
                                        ; implicit-def: $vgpr16_vgpr17
	s_cbranch_execz .LBB18_12
; %bb.19:                               ;   in Loop: Header=BB18_6 Depth=1
	s_waitcnt lgkmcnt(0)
	v_pk_mov_b32 v[16:17], 0, 0
	s_and_saveexec_b64 s[12:13], s[6:7]
	s_cbranch_execz .LBB18_23
; %bb.20:                               ;   in Loop: Header=BB18_6 Depth=1
	v_add_u32_e32 v9, s27, v32
	v_cmp_gt_i32_e32 vcc, s24, v9
	v_pk_mov_b32 v[16:17], 0, 0
	s_and_saveexec_b64 s[18:19], vcc
	s_cbranch_execz .LBB18_22
; %bb.21:                               ;   in Loop: Header=BB18_6 Depth=1
	v_ashrrev_i32_e32 v9, 31, v8
	v_lshlrev_b64 v[16:17], 3, v[8:9]
	v_add_co_u32_e32 v16, vcc, v28, v16
	v_addc_co_u32_e32 v17, vcc, v29, v17, vcc
	global_load_dwordx2 v[16:17], v[16:17], off
.LBB18_22:                              ;   in Loop: Header=BB18_6 Depth=1
	s_or_b64 exec, exec, s[18:19]
.LBB18_23:                              ;   in Loop: Header=BB18_6 Depth=1
	s_or_b64 exec, exec, s[12:13]
	s_and_b64 vcc, exec, s[16:17]
	s_cbranch_vccnz .LBB18_13
.LBB18_24:                              ;   in Loop: Header=BB18_6 Depth=1
                                        ; implicit-def: $vgpr18_vgpr19
.LBB18_25:                              ;   in Loop: Header=BB18_6 Depth=1
	s_waitcnt vmcnt(0)
	v_pk_mov_b32 v[18:19], 0, 0
	s_and_saveexec_b64 s[12:13], s[0:1]
	s_cbranch_execz .LBB18_4
; %bb.26:                               ;   in Loop: Header=BB18_6 Depth=1
	v_add_u32_e32 v9, s27, v21
	v_cmp_gt_i32_e32 vcc, s24, v9
	v_pk_mov_b32 v[18:19], 0, 0
	s_and_saveexec_b64 s[18:19], vcc
	s_cbranch_execz .LBB18_3
; %bb.27:                               ;   in Loop: Header=BB18_6 Depth=1
	v_ashrrev_i32_e32 v13, 31, v12
	v_lshlrev_b64 v[18:19], 3, v[12:13]
	v_add_co_u32_e32 v18, vcc, v30, v18
	v_addc_co_u32_e32 v19, vcc, v31, v19, vcc
	global_load_dwordx2 v[18:19], v[18:19], off
	s_branch .LBB18_3
.LBB18_28:
	s_load_dwordx2 s[0:1], s[4:5], 0x80
	s_load_dwordx8 s[12:19], s[4:5], 0x60
	s_waitcnt lgkmcnt(0)
	s_mul_i32 s1, s8, s1
	s_mul_hi_u32 s2, s8, s0
	s_mul_i32 s3, s9, s0
	s_add_i32 s1, s2, s1
	s_mul_i32 s0, s8, s0
	s_add_i32 s1, s1, s3
	s_lshl_b64 s[0:1], s[0:1], 3
	s_add_u32 s2, s14, s0
	s_addc_u32 s3, s15, s1
	s_lshl_b64 s[0:1], s[16:17], 3
	s_add_u32 s2, s2, s0
	v_mul_lo_u32 v8, v23, s18
	s_addc_u32 s3, s3, s1
	v_mad_u64_u32 v[8:9], s[0:1], v24, s19, v[8:9]
	v_ashrrev_i32_e32 v9, 31, v8
	v_lshlrev_b64 v[8:9], 3, v[8:9]
	v_mov_b32_e32 v11, s3
	v_add_co_u32_e32 v10, vcc, s2, v8
	v_addc_co_u32_e32 v11, vcc, v11, v9, vcc
	v_lshlrev_b32_e32 v8, 4, v22
	v_mbcnt_hi_u32_b32 v9, -1, v27
	v_and_b32_e32 v8, 48, v8
	v_and_b32_e32 v9, 64, v9
	v_or3_b32 v8, v8, v9, v26
	v_lshlrev_b32_e32 v12, 2, v8
	ds_bpermute_b32 v8, v12, v0
	ds_bpermute_b32 v9, v12, v1
	v_cmp_lt_i32_e32 vcc, v26, v25
	v_cmp_lt_i32_e64 s[0:1], v21, v20
	v_mul_lo_u32 v0, v26, s19
	s_and_b64 s[0:1], vcc, s[0:1]
	s_and_saveexec_b64 s[2:3], s[0:1]
	s_cbranch_execz .LBB18_30
; %bb.29:
	v_mad_u64_u32 v[14:15], s[0:1], v21, s18, v[0:1]
	v_ashrrev_i32_e32 v15, 31, v14
	v_lshlrev_b64 v[14:15], 3, v[14:15]
	v_add_co_u32_e64 v14, s[0:1], v10, v14
	v_addc_co_u32_e64 v15, s[0:1], v11, v15, s[0:1]
	global_load_dwordx2 v[16:17], v[14:15], off
	s_waitcnt vmcnt(0)
	v_mul_f64 v[16:17], v[16:17], s[12:13]
	s_waitcnt lgkmcnt(0)
	v_fmac_f64_e32 v[16:17], s[20:21], v[8:9]
	global_store_dwordx2 v[14:15], v[16:17], off
.LBB18_30:
	s_or_b64 exec, exec, s[2:3]
	ds_bpermute_b32 v2, v12, v2
	ds_bpermute_b32 v3, v12, v3
	v_or_b32_e32 v1, 4, v21
	v_cmp_lt_i32_e64 s[0:1], v1, v20
	s_and_b64 s[0:1], vcc, s[0:1]
	s_and_saveexec_b64 s[2:3], s[0:1]
	s_cbranch_execz .LBB18_32
; %bb.31:
	s_waitcnt lgkmcnt(2)
	v_mad_u64_u32 v[8:9], s[0:1], v1, s18, v[0:1]
	v_ashrrev_i32_e32 v9, 31, v8
	v_lshlrev_b64 v[8:9], 3, v[8:9]
	v_add_co_u32_e64 v8, s[0:1], v10, v8
	v_addc_co_u32_e64 v9, s[0:1], v11, v9, s[0:1]
	global_load_dwordx2 v[14:15], v[8:9], off
	s_waitcnt vmcnt(0)
	v_mul_f64 v[14:15], v[14:15], s[12:13]
	s_waitcnt lgkmcnt(0)
	v_fmac_f64_e32 v[14:15], s[20:21], v[2:3]
	global_store_dwordx2 v[8:9], v[14:15], off
.LBB18_32:
	s_or_b64 exec, exec, s[2:3]
	s_waitcnt lgkmcnt(1)
	ds_bpermute_b32 v2, v12, v4
	s_waitcnt lgkmcnt(1)
	ds_bpermute_b32 v3, v12, v5
	v_or_b32_e32 v1, 8, v21
	v_cmp_lt_i32_e64 s[0:1], v1, v20
	s_and_b64 s[0:1], vcc, s[0:1]
	s_and_saveexec_b64 s[2:3], s[0:1]
	s_cbranch_execz .LBB18_34
; %bb.33:
	v_mad_u64_u32 v[4:5], s[0:1], v1, s18, v[0:1]
	v_ashrrev_i32_e32 v5, 31, v4
	v_lshlrev_b64 v[4:5], 3, v[4:5]
	v_add_co_u32_e64 v4, s[0:1], v10, v4
	v_addc_co_u32_e64 v5, s[0:1], v11, v5, s[0:1]
	global_load_dwordx2 v[8:9], v[4:5], off
	s_waitcnt vmcnt(0)
	v_mul_f64 v[8:9], v[8:9], s[12:13]
	s_waitcnt lgkmcnt(0)
	v_fmac_f64_e32 v[8:9], s[20:21], v[2:3]
	global_store_dwordx2 v[4:5], v[8:9], off
.LBB18_34:
	s_or_b64 exec, exec, s[2:3]
	s_waitcnt lgkmcnt(1)
	ds_bpermute_b32 v2, v12, v6
	s_waitcnt lgkmcnt(1)
	ds_bpermute_b32 v3, v12, v7
	v_or_b32_e32 v1, 12, v21
	v_cmp_lt_i32_e64 s[0:1], v1, v20
	s_and_b64 s[0:1], vcc, s[0:1]
	s_and_b64 exec, exec, s[0:1]
	s_cbranch_execz .LBB18_36
; %bb.35:
	v_mad_u64_u32 v[0:1], s[0:1], v1, s18, v[0:1]
	v_ashrrev_i32_e32 v1, 31, v0
	v_lshlrev_b64 v[0:1], 3, v[0:1]
	v_add_co_u32_e32 v0, vcc, v10, v0
	v_addc_co_u32_e32 v1, vcc, v11, v1, vcc
	global_load_dwordx2 v[4:5], v[0:1], off
	s_waitcnt vmcnt(0)
	v_mul_f64 v[4:5], v[4:5], s[12:13]
	s_waitcnt lgkmcnt(0)
	v_fmac_f64_e32 v[4:5], s[20:21], v[2:3]
	global_store_dwordx2 v[0:1], v[4:5], off
.LBB18_36:
	s_endpgm
	.section	.rodata,"a",@progbits
	.p2align	6, 0x0
	.amdhsa_kernel _ZN9rocsolver6v33100L16mfma_gemm_kernelIdidPKPdS4_S2_EEv18rocblas_operation_S5_T0_S6_S6_T1_T2_lS6_S6_lT3_lS6_S6_lS7_T4_lS6_S6_l
		.amdhsa_group_segment_fixed_size 0
		.amdhsa_private_segment_fixed_size 0
		.amdhsa_kernarg_size 392
		.amdhsa_user_sgpr_count 6
		.amdhsa_user_sgpr_private_segment_buffer 1
		.amdhsa_user_sgpr_dispatch_ptr 0
		.amdhsa_user_sgpr_queue_ptr 0
		.amdhsa_user_sgpr_kernarg_segment_ptr 1
		.amdhsa_user_sgpr_dispatch_id 0
		.amdhsa_user_sgpr_flat_scratch_init 0
		.amdhsa_user_sgpr_kernarg_preload_length 0
		.amdhsa_user_sgpr_kernarg_preload_offset 0
		.amdhsa_user_sgpr_private_segment_size 0
		.amdhsa_uses_dynamic_stack 0
		.amdhsa_system_sgpr_private_segment_wavefront_offset 0
		.amdhsa_system_sgpr_workgroup_id_x 1
		.amdhsa_system_sgpr_workgroup_id_y 1
		.amdhsa_system_sgpr_workgroup_id_z 1
		.amdhsa_system_sgpr_workgroup_info 0
		.amdhsa_system_vgpr_workitem_id 1
		.amdhsa_next_free_vgpr 34
		.amdhsa_next_free_sgpr 30
		.amdhsa_accum_offset 36
		.amdhsa_reserve_vcc 1
		.amdhsa_reserve_flat_scratch 0
		.amdhsa_float_round_mode_32 0
		.amdhsa_float_round_mode_16_64 0
		.amdhsa_float_denorm_mode_32 3
		.amdhsa_float_denorm_mode_16_64 3
		.amdhsa_dx10_clamp 1
		.amdhsa_ieee_mode 1
		.amdhsa_fp16_overflow 0
		.amdhsa_tg_split 0
		.amdhsa_exception_fp_ieee_invalid_op 0
		.amdhsa_exception_fp_denorm_src 0
		.amdhsa_exception_fp_ieee_div_zero 0
		.amdhsa_exception_fp_ieee_overflow 0
		.amdhsa_exception_fp_ieee_underflow 0
		.amdhsa_exception_fp_ieee_inexact 0
		.amdhsa_exception_int_div_zero 0
	.end_amdhsa_kernel
	.section	.text._ZN9rocsolver6v33100L16mfma_gemm_kernelIdidPKPdS4_S2_EEv18rocblas_operation_S5_T0_S6_S6_T1_T2_lS6_S6_lT3_lS6_S6_lS7_T4_lS6_S6_l,"axG",@progbits,_ZN9rocsolver6v33100L16mfma_gemm_kernelIdidPKPdS4_S2_EEv18rocblas_operation_S5_T0_S6_S6_T1_T2_lS6_S6_lT3_lS6_S6_lS7_T4_lS6_S6_l,comdat
.Lfunc_end18:
	.size	_ZN9rocsolver6v33100L16mfma_gemm_kernelIdidPKPdS4_S2_EEv18rocblas_operation_S5_T0_S6_S6_T1_T2_lS6_S6_lT3_lS6_S6_lS7_T4_lS6_S6_l, .Lfunc_end18-_ZN9rocsolver6v33100L16mfma_gemm_kernelIdidPKPdS4_S2_EEv18rocblas_operation_S5_T0_S6_S6_T1_T2_lS6_S6_lT3_lS6_S6_lS7_T4_lS6_S6_l
                                        ; -- End function
	.section	.AMDGPU.csdata,"",@progbits
; Kernel info:
; codeLenInByte = 1700
; NumSgprs: 34
; NumVgprs: 34
; NumAgprs: 0
; TotalNumVgprs: 34
; ScratchSize: 0
; MemoryBound: 0
; FloatMode: 240
; IeeeMode: 1
; LDSByteSize: 0 bytes/workgroup (compile time only)
; SGPRBlocks: 4
; VGPRBlocks: 4
; NumSGPRsForWavesPerEU: 34
; NumVGPRsForWavesPerEU: 34
; AccumOffset: 36
; Occupancy: 8
; WaveLimiterHint : 1
; COMPUTE_PGM_RSRC2:SCRATCH_EN: 0
; COMPUTE_PGM_RSRC2:USER_SGPR: 6
; COMPUTE_PGM_RSRC2:TRAP_HANDLER: 0
; COMPUTE_PGM_RSRC2:TGID_X_EN: 1
; COMPUTE_PGM_RSRC2:TGID_Y_EN: 1
; COMPUTE_PGM_RSRC2:TGID_Z_EN: 1
; COMPUTE_PGM_RSRC2:TIDIG_COMP_CNT: 1
; COMPUTE_PGM_RSRC3_GFX90A:ACCUM_OFFSET: 8
; COMPUTE_PGM_RSRC3_GFX90A:TG_SPLIT: 0
	.section	.text._ZN9rocsolver6v33100L11gemm_kernelIdiPKdPKPdS6_S4_EEvT0_S7_S7_T1_bT2_lS7_S7_lbT3_lS7_S7_lS8_T4_lS7_S7_l,"axG",@progbits,_ZN9rocsolver6v33100L11gemm_kernelIdiPKdPKPdS6_S4_EEvT0_S7_S7_T1_bT2_lS7_S7_lbT3_lS7_S7_lS8_T4_lS7_S7_l,comdat
	.globl	_ZN9rocsolver6v33100L11gemm_kernelIdiPKdPKPdS6_S4_EEvT0_S7_S7_T1_bT2_lS7_S7_lbT3_lS7_S7_lS8_T4_lS7_S7_l ; -- Begin function _ZN9rocsolver6v33100L11gemm_kernelIdiPKdPKPdS6_S4_EEvT0_S7_S7_T1_bT2_lS7_S7_lbT3_lS7_S7_lS8_T4_lS7_S7_l
	.p2align	8
	.type	_ZN9rocsolver6v33100L11gemm_kernelIdiPKdPKPdS6_S4_EEvT0_S7_S7_T1_bT2_lS7_S7_lbT3_lS7_S7_lS8_T4_lS7_S7_l,@function
_ZN9rocsolver6v33100L11gemm_kernelIdiPKdPKPdS6_S4_EEvT0_S7_S7_T1_bT2_lS7_S7_lbT3_lS7_S7_lS8_T4_lS7_S7_l: ; @_ZN9rocsolver6v33100L11gemm_kernelIdiPKdPKPdS6_S4_EEvT0_S7_S7_T1_bT2_lS7_S7_lbT3_lS7_S7_lS8_T4_lS7_S7_l
; %bb.0:
	s_load_dword s0, s[4:5], 0x9c
	s_load_dwordx4 s[12:15], s[4:5], 0x0
	v_and_b32_e32 v1, 0x3ff, v0
	v_bfe_u32 v0, v0, 10, 10
	s_waitcnt lgkmcnt(0)
	s_and_b32 s1, s0, 0xffff
	s_lshr_b32 s0, s0, 16
	s_mul_i32 s7, s7, s0
	s_mul_i32 s6, s6, s1
	v_add_u32_e32 v6, s6, v1
	v_add_u32_e32 v7, s7, v0
	v_cmp_gt_i32_e32 vcc, s12, v6
	v_cmp_gt_i32_e64 s[0:1], s13, v7
	s_and_b64 s[0:1], vcc, s[0:1]
	s_and_saveexec_b64 s[2:3], s[0:1]
	s_cbranch_execz .LBB19_6
; %bb.1:
	s_load_dwordx2 s[6:7], s[4:5], 0x78
	s_load_dwordx2 s[10:11], s[4:5], 0x10
	s_load_dwordx4 s[0:3], s[4:5], 0x68
	s_ashr_i32 s9, s8, 31
	s_cmp_lt_i32 s14, 1
	s_cbranch_scc1 .LBB19_4
; %bb.2:
	s_load_dwordx4 s[16:19], s[4:5], 0x20
	s_load_dwordx2 s[24:25], s[4:5], 0x30
	s_load_dwordx4 s[20:23], s[4:5], 0x48
	s_load_dwordx2 s[12:13], s[4:5], 0x58
	s_lshl_b64 s[26:27], s[8:9], 3
	s_waitcnt lgkmcnt(0)
	s_add_u32 s16, s16, s26
	s_addc_u32 s17, s17, s27
	s_add_u32 s20, s20, s26
	s_addc_u32 s21, s21, s27
	s_load_dwordx2 s[20:21], s[20:21], 0x0
	v_mul_lo_u32 v2, v7, s13
	s_load_dwordx2 s[16:17], s[16:17], 0x0
	s_lshl_b64 s[22:23], s[22:23], 3
	v_ashrrev_i32_e32 v3, 31, v2
	v_lshlrev_b64 v[2:3], 3, v[2:3]
	s_waitcnt lgkmcnt(0)
	s_add_u32 s13, s20, s22
	s_addc_u32 s15, s21, s23
	v_add_co_u32_e32 v2, vcc, s13, v2
	s_ashr_i32 s13, s12, 31
	s_lshl_b64 s[12:13], s[12:13], 3
	s_lshl_b64 s[18:19], s[18:19], 3
	v_mul_lo_u32 v0, v6, s24
	v_mov_b32_e32 v1, s15
	s_add_u32 s15, s16, s18
	v_addc_co_u32_e32 v3, vcc, v1, v3, vcc
	v_ashrrev_i32_e32 v1, 31, v0
	s_addc_u32 s16, s17, s19
	v_lshlrev_b64 v[0:1], 3, v[0:1]
	v_mov_b32_e32 v5, s16
	s_ashr_i32 s17, s25, 31
	s_mov_b32 s16, s25
	v_add_co_u32_e32 v4, vcc, s15, v0
	s_lshl_b64 s[16:17], s[16:17], 3
	v_addc_co_u32_e32 v5, vcc, v5, v1, vcc
	v_pk_mov_b32 v[0:1], 0, 0
	v_mov_b32_e32 v8, s13
	v_mov_b32_e32 v9, s17
.LBB19_3:                               ; =>This Inner Loop Header: Depth=1
	global_load_dwordx2 v[10:11], v[4:5], off
	global_load_dwordx2 v[12:13], v[2:3], off
	v_add_co_u32_e32 v2, vcc, s12, v2
	v_addc_co_u32_e32 v3, vcc, v3, v8, vcc
	v_add_co_u32_e32 v4, vcc, s16, v4
	s_add_i32 s14, s14, -1
	v_addc_co_u32_e32 v5, vcc, v5, v9, vcc
	s_cmp_eq_u32 s14, 0
	s_waitcnt vmcnt(0)
	v_fmac_f64_e32 v[0:1], v[10:11], v[12:13]
	s_cbranch_scc0 .LBB19_3
	s_branch .LBB19_5
.LBB19_4:
	v_pk_mov_b32 v[0:1], 0, 0
.LBB19_5:
	s_waitcnt lgkmcnt(0)
	s_load_dwordx2 s[12:13], s[10:11], 0x0
	s_load_dwordx2 s[14:15], s[0:1], 0x0
                                        ; kill: killed $sgpr0_sgpr1
                                        ; kill: killed $sgpr10_sgpr11
	s_load_dwordx4 s[16:19], s[4:5], 0x80
	s_waitcnt lgkmcnt(0)
	s_mul_i32 s1, s8, s19
	s_mul_hi_u32 s4, s8, s18
	s_mul_i32 s5, s9, s18
	s_add_i32 s1, s4, s1
	s_mul_i32 s0, s8, s18
	s_add_i32 s1, s1, s5
	s_lshl_b64 s[0:1], s[0:1], 3
	s_add_u32 s2, s2, s0
	s_addc_u32 s3, s3, s1
	s_lshl_b64 s[0:1], s[6:7], 3
	s_add_u32 s2, s2, s0
	v_mul_lo_u32 v2, v6, s16
	s_addc_u32 s3, s3, s1
	v_mad_u64_u32 v[2:3], s[0:1], v7, s17, v[2:3]
	v_ashrrev_i32_e32 v3, 31, v2
	v_lshlrev_b64 v[2:3], 3, v[2:3]
	v_mov_b32_e32 v4, s3
	v_add_co_u32_e32 v2, vcc, s2, v2
	v_addc_co_u32_e32 v3, vcc, v4, v3, vcc
	global_load_dwordx2 v[4:5], v[2:3], off
	s_waitcnt vmcnt(0)
	v_mul_f64 v[4:5], s[14:15], v[4:5]
	v_fmac_f64_e32 v[4:5], s[12:13], v[0:1]
	global_store_dwordx2 v[2:3], v[4:5], off
.LBB19_6:
	s_endpgm
	.section	.rodata,"a",@progbits
	.p2align	6, 0x0
	.amdhsa_kernel _ZN9rocsolver6v33100L11gemm_kernelIdiPKdPKPdS6_S4_EEvT0_S7_S7_T1_bT2_lS7_S7_lbT3_lS7_S7_lS8_T4_lS7_S7_l
		.amdhsa_group_segment_fixed_size 0
		.amdhsa_private_segment_fixed_size 0
		.amdhsa_kernarg_size 400
		.amdhsa_user_sgpr_count 6
		.amdhsa_user_sgpr_private_segment_buffer 1
		.amdhsa_user_sgpr_dispatch_ptr 0
		.amdhsa_user_sgpr_queue_ptr 0
		.amdhsa_user_sgpr_kernarg_segment_ptr 1
		.amdhsa_user_sgpr_dispatch_id 0
		.amdhsa_user_sgpr_flat_scratch_init 0
		.amdhsa_user_sgpr_kernarg_preload_length 0
		.amdhsa_user_sgpr_kernarg_preload_offset 0
		.amdhsa_user_sgpr_private_segment_size 0
		.amdhsa_uses_dynamic_stack 0
		.amdhsa_system_sgpr_private_segment_wavefront_offset 0
		.amdhsa_system_sgpr_workgroup_id_x 1
		.amdhsa_system_sgpr_workgroup_id_y 1
		.amdhsa_system_sgpr_workgroup_id_z 1
		.amdhsa_system_sgpr_workgroup_info 0
		.amdhsa_system_vgpr_workitem_id 1
		.amdhsa_next_free_vgpr 14
		.amdhsa_next_free_sgpr 28
		.amdhsa_accum_offset 16
		.amdhsa_reserve_vcc 1
		.amdhsa_reserve_flat_scratch 0
		.amdhsa_float_round_mode_32 0
		.amdhsa_float_round_mode_16_64 0
		.amdhsa_float_denorm_mode_32 3
		.amdhsa_float_denorm_mode_16_64 3
		.amdhsa_dx10_clamp 1
		.amdhsa_ieee_mode 1
		.amdhsa_fp16_overflow 0
		.amdhsa_tg_split 0
		.amdhsa_exception_fp_ieee_invalid_op 0
		.amdhsa_exception_fp_denorm_src 0
		.amdhsa_exception_fp_ieee_div_zero 0
		.amdhsa_exception_fp_ieee_overflow 0
		.amdhsa_exception_fp_ieee_underflow 0
		.amdhsa_exception_fp_ieee_inexact 0
		.amdhsa_exception_int_div_zero 0
	.end_amdhsa_kernel
	.section	.text._ZN9rocsolver6v33100L11gemm_kernelIdiPKdPKPdS6_S4_EEvT0_S7_S7_T1_bT2_lS7_S7_lbT3_lS7_S7_lS8_T4_lS7_S7_l,"axG",@progbits,_ZN9rocsolver6v33100L11gemm_kernelIdiPKdPKPdS6_S4_EEvT0_S7_S7_T1_bT2_lS7_S7_lbT3_lS7_S7_lS8_T4_lS7_S7_l,comdat
.Lfunc_end19:
	.size	_ZN9rocsolver6v33100L11gemm_kernelIdiPKdPKPdS6_S4_EEvT0_S7_S7_T1_bT2_lS7_S7_lbT3_lS7_S7_lS8_T4_lS7_S7_l, .Lfunc_end19-_ZN9rocsolver6v33100L11gemm_kernelIdiPKdPKPdS6_S4_EEvT0_S7_S7_T1_bT2_lS7_S7_lbT3_lS7_S7_lS8_T4_lS7_S7_l
                                        ; -- End function
	.section	.AMDGPU.csdata,"",@progbits
; Kernel info:
; codeLenInByte = 544
; NumSgprs: 32
; NumVgprs: 14
; NumAgprs: 0
; TotalNumVgprs: 14
; ScratchSize: 0
; MemoryBound: 0
; FloatMode: 240
; IeeeMode: 1
; LDSByteSize: 0 bytes/workgroup (compile time only)
; SGPRBlocks: 3
; VGPRBlocks: 1
; NumSGPRsForWavesPerEU: 32
; NumVGPRsForWavesPerEU: 14
; AccumOffset: 16
; Occupancy: 8
; WaveLimiterHint : 1
; COMPUTE_PGM_RSRC2:SCRATCH_EN: 0
; COMPUTE_PGM_RSRC2:USER_SGPR: 6
; COMPUTE_PGM_RSRC2:TRAP_HANDLER: 0
; COMPUTE_PGM_RSRC2:TGID_X_EN: 1
; COMPUTE_PGM_RSRC2:TGID_Y_EN: 1
; COMPUTE_PGM_RSRC2:TGID_Z_EN: 1
; COMPUTE_PGM_RSRC2:TIDIG_COMP_CNT: 1
; COMPUTE_PGM_RSRC3_GFX90A:ACCUM_OFFSET: 3
; COMPUTE_PGM_RSRC3_GFX90A:TG_SPLIT: 0
	.section	.text._ZN9rocsolver6v33100L11gemm_kernelIdidPKPdS4_S2_EEvT0_S5_S5_T1_bT2_lS5_S5_lbT3_lS5_S5_lS6_T4_lS5_S5_l,"axG",@progbits,_ZN9rocsolver6v33100L11gemm_kernelIdidPKPdS4_S2_EEvT0_S5_S5_T1_bT2_lS5_S5_lbT3_lS5_S5_lS6_T4_lS5_S5_l,comdat
	.globl	_ZN9rocsolver6v33100L11gemm_kernelIdidPKPdS4_S2_EEvT0_S5_S5_T1_bT2_lS5_S5_lbT3_lS5_S5_lS6_T4_lS5_S5_l ; -- Begin function _ZN9rocsolver6v33100L11gemm_kernelIdidPKPdS4_S2_EEvT0_S5_S5_T1_bT2_lS5_S5_lbT3_lS5_S5_lS6_T4_lS5_S5_l
	.p2align	8
	.type	_ZN9rocsolver6v33100L11gemm_kernelIdidPKPdS4_S2_EEvT0_S5_S5_T1_bT2_lS5_S5_lbT3_lS5_S5_lS6_T4_lS5_S5_l,@function
_ZN9rocsolver6v33100L11gemm_kernelIdidPKPdS4_S2_EEvT0_S5_S5_T1_bT2_lS5_S5_lbT3_lS5_S5_lS6_T4_lS5_S5_l: ; @_ZN9rocsolver6v33100L11gemm_kernelIdidPKPdS4_S2_EEvT0_S5_S5_T1_bT2_lS5_S5_lbT3_lS5_S5_lS6_T4_lS5_S5_l
; %bb.0:
	s_load_dword s9, s[4:5], 0x9c
	s_load_dwordx4 s[0:3], s[4:5], 0x0
	v_and_b32_e32 v1, 0x3ff, v0
	v_bfe_u32 v0, v0, 10, 10
	s_waitcnt lgkmcnt(0)
	s_and_b32 s3, s9, 0xffff
	s_lshr_b32 s9, s9, 16
	s_mul_i32 s7, s7, s9
	s_mul_i32 s6, s6, s3
	v_add_u32_e32 v6, s6, v1
	v_add_u32_e32 v7, s7, v0
	v_cmp_gt_i32_e32 vcc, s0, v6
	v_cmp_gt_i32_e64 s[0:1], s1, v7
	s_and_b64 s[0:1], vcc, s[0:1]
	s_and_saveexec_b64 s[6:7], s[0:1]
	s_cbranch_execz .LBB20_6
; %bb.1:
	s_ashr_i32 s9, s8, 31
	s_cmp_lt_i32 s2, 1
	s_cbranch_scc1 .LBB20_4
; %bb.2:
	s_load_dwordx4 s[12:15], s[4:5], 0x20
	s_load_dwordx2 s[6:7], s[4:5], 0x30
	s_load_dwordx4 s[16:19], s[4:5], 0x48
	s_load_dwordx2 s[0:1], s[4:5], 0x58
	s_lshl_b64 s[10:11], s[8:9], 3
	s_waitcnt lgkmcnt(0)
	s_add_u32 s12, s12, s10
	s_addc_u32 s13, s13, s11
	s_add_u32 s10, s16, s10
	s_addc_u32 s11, s17, s11
	s_load_dwordx2 s[10:11], s[10:11], 0x0
	v_mul_lo_u32 v2, v7, s1
	s_load_dwordx2 s[12:13], s[12:13], 0x0
	s_lshl_b64 s[16:17], s[18:19], 3
	v_ashrrev_i32_e32 v3, 31, v2
	v_lshlrev_b64 v[2:3], 3, v[2:3]
	s_waitcnt lgkmcnt(0)
	s_add_u32 s1, s10, s16
	s_addc_u32 s3, s11, s17
	v_add_co_u32_e32 v2, vcc, s1, v2
	s_ashr_i32 s1, s0, 31
	v_mul_lo_u32 v0, v6, s6
	v_mov_b32_e32 v1, s3
	s_lshl_b64 s[0:1], s[0:1], 3
	s_lshl_b64 s[10:11], s[14:15], 3
	v_addc_co_u32_e32 v3, vcc, v1, v3, vcc
	v_ashrrev_i32_e32 v1, 31, v0
	s_add_u32 s3, s12, s10
	v_lshlrev_b64 v[0:1], 3, v[0:1]
	s_addc_u32 s6, s13, s11
	s_ashr_i32 s11, s7, 31
	s_mov_b32 s10, s7
	v_mov_b32_e32 v5, s6
	v_add_co_u32_e32 v4, vcc, s3, v0
	s_lshl_b64 s[6:7], s[10:11], 3
	v_addc_co_u32_e32 v5, vcc, v5, v1, vcc
	v_pk_mov_b32 v[0:1], 0, 0
	v_mov_b32_e32 v8, s1
	v_mov_b32_e32 v9, s7
.LBB20_3:                               ; =>This Inner Loop Header: Depth=1
	global_load_dwordx2 v[10:11], v[4:5], off
	global_load_dwordx2 v[12:13], v[2:3], off
	v_add_co_u32_e32 v2, vcc, s0, v2
	v_addc_co_u32_e32 v3, vcc, v3, v8, vcc
	v_add_co_u32_e32 v4, vcc, s6, v4
	s_add_i32 s2, s2, -1
	v_addc_co_u32_e32 v5, vcc, v5, v9, vcc
	s_cmp_eq_u32 s2, 0
	s_waitcnt vmcnt(0)
	v_fmac_f64_e32 v[0:1], v[10:11], v[12:13]
	s_cbranch_scc0 .LBB20_3
	s_branch .LBB20_5
.LBB20_4:
	v_pk_mov_b32 v[0:1], 0, 0
.LBB20_5:
	s_load_dwordx2 s[0:1], s[4:5], 0x88
	s_load_dwordx8 s[12:19], s[4:5], 0x68
	s_waitcnt lgkmcnt(0)
	s_mul_i32 s1, s8, s1
	s_mul_hi_u32 s2, s8, s0
	s_mul_i32 s3, s9, s0
	s_add_i32 s1, s2, s1
	s_mul_i32 s0, s8, s0
	s_add_i32 s1, s1, s3
	s_lshl_b64 s[0:1], s[0:1], 3
	s_add_u32 s2, s14, s0
	s_addc_u32 s3, s15, s1
	s_lshl_b64 s[0:1], s[16:17], 3
	s_add_u32 s2, s2, s0
	v_mul_lo_u32 v2, v6, s18
	s_addc_u32 s3, s3, s1
	v_mad_u64_u32 v[2:3], s[0:1], v7, s19, v[2:3]
	v_ashrrev_i32_e32 v3, 31, v2
	v_lshlrev_b64 v[2:3], 3, v[2:3]
	v_mov_b32_e32 v4, s3
	v_add_co_u32_e32 v2, vcc, s2, v2
	v_addc_co_u32_e32 v3, vcc, v4, v3, vcc
	global_load_dwordx2 v[4:5], v[2:3], off
	s_load_dwordx2 s[0:1], s[4:5], 0x10
	s_waitcnt vmcnt(0)
	v_mul_f64 v[4:5], v[4:5], s[12:13]
	s_waitcnt lgkmcnt(0)
	v_fmac_f64_e32 v[4:5], s[0:1], v[0:1]
	global_store_dwordx2 v[2:3], v[4:5], off
.LBB20_6:
	s_endpgm
	.section	.rodata,"a",@progbits
	.p2align	6, 0x0
	.amdhsa_kernel _ZN9rocsolver6v33100L11gemm_kernelIdidPKPdS4_S2_EEvT0_S5_S5_T1_bT2_lS5_S5_lbT3_lS5_S5_lS6_T4_lS5_S5_l
		.amdhsa_group_segment_fixed_size 0
		.amdhsa_private_segment_fixed_size 0
		.amdhsa_kernarg_size 400
		.amdhsa_user_sgpr_count 6
		.amdhsa_user_sgpr_private_segment_buffer 1
		.amdhsa_user_sgpr_dispatch_ptr 0
		.amdhsa_user_sgpr_queue_ptr 0
		.amdhsa_user_sgpr_kernarg_segment_ptr 1
		.amdhsa_user_sgpr_dispatch_id 0
		.amdhsa_user_sgpr_flat_scratch_init 0
		.amdhsa_user_sgpr_kernarg_preload_length 0
		.amdhsa_user_sgpr_kernarg_preload_offset 0
		.amdhsa_user_sgpr_private_segment_size 0
		.amdhsa_uses_dynamic_stack 0
		.amdhsa_system_sgpr_private_segment_wavefront_offset 0
		.amdhsa_system_sgpr_workgroup_id_x 1
		.amdhsa_system_sgpr_workgroup_id_y 1
		.amdhsa_system_sgpr_workgroup_id_z 1
		.amdhsa_system_sgpr_workgroup_info 0
		.amdhsa_system_vgpr_workitem_id 1
		.amdhsa_next_free_vgpr 14
		.amdhsa_next_free_sgpr 20
		.amdhsa_accum_offset 16
		.amdhsa_reserve_vcc 1
		.amdhsa_reserve_flat_scratch 0
		.amdhsa_float_round_mode_32 0
		.amdhsa_float_round_mode_16_64 0
		.amdhsa_float_denorm_mode_32 3
		.amdhsa_float_denorm_mode_16_64 3
		.amdhsa_dx10_clamp 1
		.amdhsa_ieee_mode 1
		.amdhsa_fp16_overflow 0
		.amdhsa_tg_split 0
		.amdhsa_exception_fp_ieee_invalid_op 0
		.amdhsa_exception_fp_denorm_src 0
		.amdhsa_exception_fp_ieee_div_zero 0
		.amdhsa_exception_fp_ieee_overflow 0
		.amdhsa_exception_fp_ieee_underflow 0
		.amdhsa_exception_fp_ieee_inexact 0
		.amdhsa_exception_int_div_zero 0
	.end_amdhsa_kernel
	.section	.text._ZN9rocsolver6v33100L11gemm_kernelIdidPKPdS4_S2_EEvT0_S5_S5_T1_bT2_lS5_S5_lbT3_lS5_S5_lS6_T4_lS5_S5_l,"axG",@progbits,_ZN9rocsolver6v33100L11gemm_kernelIdidPKPdS4_S2_EEvT0_S5_S5_T1_bT2_lS5_S5_lbT3_lS5_S5_lS6_T4_lS5_S5_l,comdat
.Lfunc_end20:
	.size	_ZN9rocsolver6v33100L11gemm_kernelIdidPKPdS4_S2_EEvT0_S5_S5_T1_bT2_lS5_S5_lbT3_lS5_S5_lS6_T4_lS5_S5_l, .Lfunc_end20-_ZN9rocsolver6v33100L11gemm_kernelIdidPKPdS4_S2_EEvT0_S5_S5_T1_bT2_lS5_S5_lbT3_lS5_S5_lS6_T4_lS5_S5_l
                                        ; -- End function
	.section	.AMDGPU.csdata,"",@progbits
; Kernel info:
; codeLenInByte = 520
; NumSgprs: 24
; NumVgprs: 14
; NumAgprs: 0
; TotalNumVgprs: 14
; ScratchSize: 0
; MemoryBound: 0
; FloatMode: 240
; IeeeMode: 1
; LDSByteSize: 0 bytes/workgroup (compile time only)
; SGPRBlocks: 2
; VGPRBlocks: 1
; NumSGPRsForWavesPerEU: 24
; NumVGPRsForWavesPerEU: 14
; AccumOffset: 16
; Occupancy: 8
; WaveLimiterHint : 1
; COMPUTE_PGM_RSRC2:SCRATCH_EN: 0
; COMPUTE_PGM_RSRC2:USER_SGPR: 6
; COMPUTE_PGM_RSRC2:TRAP_HANDLER: 0
; COMPUTE_PGM_RSRC2:TGID_X_EN: 1
; COMPUTE_PGM_RSRC2:TGID_Y_EN: 1
; COMPUTE_PGM_RSRC2:TGID_Z_EN: 1
; COMPUTE_PGM_RSRC2:TIDIG_COMP_CNT: 1
; COMPUTE_PGM_RSRC3_GFX90A:ACCUM_OFFSET: 3
; COMPUTE_PGM_RSRC3_GFX90A:TG_SPLIT: 0
	.section	.text._ZN9rocsolver6v33100L16mfma_gemm_kernelIdiPKdPKPdS4_S4_EEv18rocblas_operation_S7_T0_S8_S8_T1_T2_lS8_S8_lT3_lS8_S8_lS9_T4_lS8_S8_l,"axG",@progbits,_ZN9rocsolver6v33100L16mfma_gemm_kernelIdiPKdPKPdS4_S4_EEv18rocblas_operation_S7_T0_S8_S8_T1_T2_lS8_S8_lT3_lS8_S8_lS9_T4_lS8_S8_l,comdat
	.globl	_ZN9rocsolver6v33100L16mfma_gemm_kernelIdiPKdPKPdS4_S4_EEv18rocblas_operation_S7_T0_S8_S8_T1_T2_lS8_S8_lT3_lS8_S8_lS9_T4_lS8_S8_l ; -- Begin function _ZN9rocsolver6v33100L16mfma_gemm_kernelIdiPKdPKPdS4_S4_EEv18rocblas_operation_S7_T0_S8_S8_T1_T2_lS8_S8_lT3_lS8_S8_lS9_T4_lS8_S8_l
	.p2align	8
	.type	_ZN9rocsolver6v33100L16mfma_gemm_kernelIdiPKdPKPdS4_S4_EEv18rocblas_operation_S7_T0_S8_S8_T1_T2_lS8_S8_lT3_lS8_S8_lS9_T4_lS8_S8_l,@function
_ZN9rocsolver6v33100L16mfma_gemm_kernelIdiPKdPKPdS4_S4_EEv18rocblas_operation_S7_T0_S8_S8_T1_T2_lS8_S8_lT3_lS8_S8_lS9_T4_lS8_S8_l: ; @_ZN9rocsolver6v33100L16mfma_gemm_kernelIdiPKdPKPdS4_S4_EEv18rocblas_operation_S7_T0_S8_S8_T1_T2_lS8_S8_lT3_lS8_S8_lS9_T4_lS8_S8_l
; %bb.0:
	s_load_dword s0, s[4:5], 0x94
	s_load_dwordx4 s[20:23], s[4:5], 0x0
	v_and_b32_e32 v22, 0x3ff, v0
	v_bfe_u32 v0, v0, 10, 10
	v_lshrrev_b32_e32 v1, 6, v22
	s_waitcnt lgkmcnt(0)
	s_lshr_b32 s1, s0, 16
	s_bfe_u32 s0, s0, 0xa0006
	s_mul_i32 s7, s7, s1
	s_mul_i32 s6, s6, s0
	v_add_u32_e32 v0, s7, v0
	v_add_lshl_u32 v23, s6, v1, 4
	v_lshlrev_b32_e32 v24, 4, v0
	v_cmp_gt_i32_e32 vcc, s22, v23
	v_cmp_gt_i32_e64 s[0:1], s23, v24
	s_and_b64 s[0:1], vcc, s[0:1]
	s_and_saveexec_b64 s[2:3], s[0:1]
	s_cbranch_execz .LBB21_36
; %bb.1:
	s_ashr_i32 s6, s22, 31
	s_lshr_b32 s6, s6, 28
	s_add_i32 s6, s22, s6
	s_and_b32 s6, s6, -16
	s_load_dword s30, s[4:5], 0x10
	s_load_dwordx4 s[0:3], s[4:5], 0x18
	s_load_dwordx8 s[12:19], s[4:5], 0x58
	s_sub_i32 s6, s22, s6
	v_mov_b32_e32 v1, s6
	s_ashr_i32 s6, s23, 31
	s_lshr_b32 s6, s6, 28
	v_add_u32_e32 v0, 16, v23
	s_add_i32 s6, s23, s6
	v_cmp_lt_i32_e32 vcc, s22, v0
	v_add_u32_e32 v0, 16, v24
	s_and_b32 s6, s6, -16
	v_cndmask_b32_e32 v20, 16, v1, vcc
	s_sub_i32 s6, s23, s6
	v_cmp_lt_i32_e32 vcc, s23, v0
	s_waitcnt lgkmcnt(0)
	s_load_dwordx2 s[22:23], s[0:1], 0x0
	s_load_dwordx2 s[28:29], s[14:15], 0x0
	v_mov_b32_e32 v1, s6
	v_cndmask_b32_e32 v25, 16, v1, vcc
	s_ashr_i32 s9, s8, 31
	v_bfe_u32 v26, v22, 2, 4
	v_pk_mov_b32 v[6:7], 0, 0
	v_and_b32_e32 v21, 3, v22
	s_cmp_lt_i32 s30, 1
	v_cmp_lt_i32_e64 s[0:1], v26, v25
	v_mbcnt_lo_u32_b32 v27, -1, 0
	v_pk_mov_b32 v[4:5], v[6:7], v[6:7] op_sel:[0,1]
	v_pk_mov_b32 v[2:3], v[6:7], v[6:7] op_sel:[0,1]
	;; [unrolled: 1-line block ×3, first 2 shown]
	s_cbranch_scc1 .LBB21_28
; %bb.2:
	s_lshl_b64 s[6:7], s[8:9], 3
	s_add_u32 s2, s2, s6
	s_addc_u32 s3, s3, s7
	s_load_dwordx4 s[24:27], s[4:5], 0x28
	s_load_dwordx2 s[6:7], s[2:3], 0x0
	s_load_dwordx4 s[36:39], s[4:5], 0x40
	s_load_dwordx2 s[34:35], s[4:5], 0x50
	v_and_b32_e32 v2, 63, v22
	v_lshrrev_b32_e32 v32, 4, v2
	s_waitcnt lgkmcnt(0)
	s_lshl_b64 s[2:3], s[24:25], 3
	s_add_u32 s6, s6, s2
	s_addc_u32 s7, s7, s3
	s_mul_i32 s2, s8, s13
	s_mul_hi_u32 s3, s8, s12
	s_add_i32 s2, s3, s2
	s_mul_i32 s3, s9, s12
	s_add_i32 s3, s2, s3
	s_mul_i32 s2, s8, s12
	s_lshl_b64 s[2:3], s[2:3], 3
	s_add_u32 s10, s36, s2
	s_addc_u32 s11, s37, s3
	s_lshl_b64 s[2:3], s[38:39], 3
	s_add_u32 s2, s10, s2
	s_addc_u32 s3, s11, s3
	s_cmpk_lg_i32 s20, 0x6f
	s_cselect_b64 s[12:13], -1, 0
	s_cmpk_eq_i32 s20, 0x6f
	s_cselect_b32 s10, s26, s27
	v_mul_lo_u32 v0, v23, s10
	v_ashrrev_i32_e32 v1, 31, v0
	s_cmpk_lg_i32 s21, 0x6f
	v_lshlrev_b64 v[0:1], 3, v[0:1]
	s_cselect_b64 s[14:15], -1, 0
	s_cmpk_eq_i32 s21, 0x6f
	v_add_co_u32_e32 v28, vcc, s6, v0
	s_cselect_b32 s6, s35, s34
	v_mov_b32_e32 v3, s7
	v_mul_lo_u32 v0, v24, s6
	v_addc_co_u32_e32 v29, vcc, v3, v1, vcc
	v_ashrrev_i32_e32 v1, 31, v0
	v_lshlrev_b64 v[0:1], 3, v[0:1]
	v_mov_b32_e32 v3, s3
	v_add_co_u32_e32 v30, vcc, s2, v0
	v_addc_co_u32_e32 v31, vcc, v3, v1, vcc
	v_and_b32_e32 v1, 15, v22
	v_mul_lo_u32 v0, v1, s26
	v_lshl_or_b32 v3, v1, 2, v32
	v_mul_lo_u32 v2, v1, s34
	v_mad_u64_u32 v[8:9], s[20:21], s27, v32, v[0:1]
	v_mul_lo_u32 v0, s26, v21
	v_mad_u64_u32 v[10:11], s[20:21], v26, s27, v[0:1]
	;; [unrolled: 2-line block ×3, first 2 shown]
	v_mbcnt_hi_u32_b32 v2, -1, v27
	v_cmp_lt_i32_e64 s[6:7], v1, v20
	v_cmp_lt_i32_e64 s[10:11], v1, v25
	v_mad_u64_u32 v[12:13], s[20:21], v26, s35, v[0:1]
	v_pk_mov_b32 v[0:1], 0, 0
	v_and_or_b32 v2, v2, 64, v3
	v_cmp_lt_i32_e64 s[2:3], v26, v20
	s_lshl_b32 s31, s27, 2
	s_lshl_b32 s26, s26, 2
	;; [unrolled: 1-line block ×4, first 2 shown]
	s_mov_b32 s34, 0
	v_lshlrev_b32_e32 v33, 2, v2
	v_pk_mov_b32 v[2:3], v[0:1], v[0:1] op_sel:[0,1]
	v_pk_mov_b32 v[4:5], v[0:1], v[0:1] op_sel:[0,1]
	;; [unrolled: 1-line block ×3, first 2 shown]
	s_branch .LBB21_6
.LBB21_3:                               ;   in Loop: Header=BB21_6 Depth=1
	s_or_b64 exec, exec, s[24:25]
.LBB21_4:                               ;   in Loop: Header=BB21_6 Depth=1
	s_or_b64 exec, exec, s[20:21]
	s_waitcnt vmcnt(0)
	ds_bpermute_b32 v18, v33, v18
	ds_bpermute_b32 v19, v33, v19
.LBB21_5:                               ;   in Loop: Header=BB21_6 Depth=1
	s_waitcnt vmcnt(0) lgkmcnt(0)
	v_mfma_f64_16x16x4f64 v[0:7], v[16:17], v[18:19], v[0:7]
	s_add_i32 s34, s34, 4
	s_cmp_ge_i32 s34, s30
	v_add_u32_e32 v8, s31, v8
	v_add_u32_e32 v10, s26, v10
	v_add_u32_e32 v12, s27, v12
	v_add_u32_e32 v14, s33, v14
	s_cbranch_scc1 .LBB21_28
.LBB21_6:                               ; =>This Inner Loop Header: Depth=1
	s_and_b64 vcc, exec, s[12:13]
	s_cbranch_vccz .LBB21_18
; %bb.7:                                ;   in Loop: Header=BB21_6 Depth=1
	v_pk_mov_b32 v[16:17], 0, 0
	s_and_saveexec_b64 s[20:21], s[2:3]
	s_cbranch_execz .LBB21_11
; %bb.8:                                ;   in Loop: Header=BB21_6 Depth=1
	v_add_u32_e32 v9, s34, v21
	v_cmp_gt_i32_e32 vcc, s30, v9
	v_pk_mov_b32 v[16:17], 0, 0
	s_and_saveexec_b64 s[24:25], vcc
	s_cbranch_execz .LBB21_10
; %bb.9:                                ;   in Loop: Header=BB21_6 Depth=1
	v_ashrrev_i32_e32 v11, 31, v10
	v_lshlrev_b64 v[16:17], 3, v[10:11]
	v_add_co_u32_e32 v16, vcc, v28, v16
	v_addc_co_u32_e32 v17, vcc, v29, v17, vcc
	global_load_dwordx2 v[16:17], v[16:17], off
.LBB21_10:                              ;   in Loop: Header=BB21_6 Depth=1
	s_or_b64 exec, exec, s[24:25]
.LBB21_11:                              ;   in Loop: Header=BB21_6 Depth=1
	s_or_b64 exec, exec, s[20:21]
	s_waitcnt vmcnt(0)
	ds_bpermute_b32 v16, v33, v16
	ds_bpermute_b32 v17, v33, v17
.LBB21_12:                              ;   in Loop: Header=BB21_6 Depth=1
	s_and_b64 vcc, exec, s[14:15]
	s_cbranch_vccz .LBB21_24
.LBB21_13:                              ;   in Loop: Header=BB21_6 Depth=1
	v_pk_mov_b32 v[18:19], 0, 0
	s_and_saveexec_b64 s[20:21], s[10:11]
	s_cbranch_execz .LBB21_17
; %bb.14:                               ;   in Loop: Header=BB21_6 Depth=1
	v_add_u32_e32 v9, s34, v32
	v_cmp_gt_i32_e32 vcc, s30, v9
	v_pk_mov_b32 v[18:19], 0, 0
	s_and_saveexec_b64 s[24:25], vcc
	s_cbranch_execz .LBB21_16
; %bb.15:                               ;   in Loop: Header=BB21_6 Depth=1
	v_ashrrev_i32_e32 v15, 31, v14
	v_lshlrev_b64 v[18:19], 3, v[14:15]
	v_add_co_u32_e32 v18, vcc, v30, v18
	v_addc_co_u32_e32 v19, vcc, v31, v19, vcc
	global_load_dwordx2 v[18:19], v[18:19], off
.LBB21_16:                              ;   in Loop: Header=BB21_6 Depth=1
	s_or_b64 exec, exec, s[24:25]
.LBB21_17:                              ;   in Loop: Header=BB21_6 Depth=1
	s_or_b64 exec, exec, s[20:21]
	s_cbranch_execnz .LBB21_5
	s_branch .LBB21_25
.LBB21_18:                              ;   in Loop: Header=BB21_6 Depth=1
                                        ; implicit-def: $vgpr16_vgpr17
	s_cbranch_execz .LBB21_12
; %bb.19:                               ;   in Loop: Header=BB21_6 Depth=1
	s_waitcnt lgkmcnt(0)
	v_pk_mov_b32 v[16:17], 0, 0
	s_and_saveexec_b64 s[20:21], s[6:7]
	s_cbranch_execz .LBB21_23
; %bb.20:                               ;   in Loop: Header=BB21_6 Depth=1
	v_add_u32_e32 v9, s34, v32
	v_cmp_gt_i32_e32 vcc, s30, v9
	v_pk_mov_b32 v[16:17], 0, 0
	s_and_saveexec_b64 s[24:25], vcc
	s_cbranch_execz .LBB21_22
; %bb.21:                               ;   in Loop: Header=BB21_6 Depth=1
	v_ashrrev_i32_e32 v9, 31, v8
	v_lshlrev_b64 v[16:17], 3, v[8:9]
	v_add_co_u32_e32 v16, vcc, v28, v16
	v_addc_co_u32_e32 v17, vcc, v29, v17, vcc
	global_load_dwordx2 v[16:17], v[16:17], off
.LBB21_22:                              ;   in Loop: Header=BB21_6 Depth=1
	s_or_b64 exec, exec, s[24:25]
.LBB21_23:                              ;   in Loop: Header=BB21_6 Depth=1
	s_or_b64 exec, exec, s[20:21]
	s_and_b64 vcc, exec, s[14:15]
	s_cbranch_vccnz .LBB21_13
.LBB21_24:                              ;   in Loop: Header=BB21_6 Depth=1
                                        ; implicit-def: $vgpr18_vgpr19
.LBB21_25:                              ;   in Loop: Header=BB21_6 Depth=1
	s_waitcnt vmcnt(0)
	v_pk_mov_b32 v[18:19], 0, 0
	s_and_saveexec_b64 s[20:21], s[0:1]
	s_cbranch_execz .LBB21_4
; %bb.26:                               ;   in Loop: Header=BB21_6 Depth=1
	v_add_u32_e32 v9, s34, v21
	v_cmp_gt_i32_e32 vcc, s30, v9
	v_pk_mov_b32 v[18:19], 0, 0
	s_and_saveexec_b64 s[24:25], vcc
	s_cbranch_execz .LBB21_3
; %bb.27:                               ;   in Loop: Header=BB21_6 Depth=1
	v_ashrrev_i32_e32 v13, 31, v12
	v_lshlrev_b64 v[18:19], 3, v[12:13]
	v_add_co_u32_e32 v18, vcc, v30, v18
	v_addc_co_u32_e32 v19, vcc, v31, v19, vcc
	global_load_dwordx2 v[18:19], v[18:19], off
	s_branch .LBB21_3
.LBB21_28:
	s_load_dwordx4 s[4:7], s[4:5], 0x78
	s_waitcnt lgkmcnt(0)
	s_mul_i32 s1, s8, s7
	s_mul_hi_u32 s2, s8, s6
	s_mul_i32 s3, s9, s6
	s_add_i32 s1, s2, s1
	s_mul_i32 s0, s8, s6
	s_add_i32 s1, s1, s3
	s_lshl_b64 s[0:1], s[0:1], 3
	s_add_u32 s2, s16, s0
	s_addc_u32 s3, s17, s1
	s_lshl_b64 s[0:1], s[18:19], 3
	s_add_u32 s2, s2, s0
	v_mul_lo_u32 v8, v23, s4
	s_addc_u32 s3, s3, s1
	v_mad_u64_u32 v[8:9], s[0:1], v24, s5, v[8:9]
	v_ashrrev_i32_e32 v9, 31, v8
	v_lshlrev_b64 v[8:9], 3, v[8:9]
	v_mov_b32_e32 v11, s3
	v_add_co_u32_e32 v10, vcc, s2, v8
	v_addc_co_u32_e32 v11, vcc, v11, v9, vcc
	v_lshlrev_b32_e32 v8, 4, v22
	v_mbcnt_hi_u32_b32 v9, -1, v27
	v_and_b32_e32 v8, 48, v8
	v_and_b32_e32 v9, 64, v9
	v_or3_b32 v8, v8, v9, v26
	v_lshlrev_b32_e32 v12, 2, v8
	ds_bpermute_b32 v8, v12, v0
	ds_bpermute_b32 v9, v12, v1
	v_cmp_lt_i32_e32 vcc, v26, v25
	v_cmp_lt_i32_e64 s[0:1], v21, v20
	v_mul_lo_u32 v0, v26, s5
	s_and_b64 s[0:1], vcc, s[0:1]
	s_and_saveexec_b64 s[2:3], s[0:1]
	s_cbranch_execz .LBB21_30
; %bb.29:
	v_mad_u64_u32 v[14:15], s[0:1], v21, s4, v[0:1]
	v_ashrrev_i32_e32 v15, 31, v14
	v_lshlrev_b64 v[14:15], 3, v[14:15]
	v_add_co_u32_e64 v14, s[0:1], v10, v14
	v_addc_co_u32_e64 v15, s[0:1], v11, v15, s[0:1]
	global_load_dwordx2 v[16:17], v[14:15], off
	s_waitcnt vmcnt(0)
	v_mul_f64 v[16:17], s[28:29], v[16:17]
	s_waitcnt lgkmcnt(0)
	v_fmac_f64_e32 v[16:17], s[22:23], v[8:9]
	global_store_dwordx2 v[14:15], v[16:17], off
.LBB21_30:
	s_or_b64 exec, exec, s[2:3]
	ds_bpermute_b32 v2, v12, v2
	ds_bpermute_b32 v3, v12, v3
	v_or_b32_e32 v1, 4, v21
	v_cmp_lt_i32_e64 s[0:1], v1, v20
	s_and_b64 s[0:1], vcc, s[0:1]
	s_and_saveexec_b64 s[2:3], s[0:1]
	s_cbranch_execz .LBB21_32
; %bb.31:
	s_waitcnt lgkmcnt(2)
	v_mad_u64_u32 v[8:9], s[0:1], v1, s4, v[0:1]
	v_ashrrev_i32_e32 v9, 31, v8
	v_lshlrev_b64 v[8:9], 3, v[8:9]
	v_add_co_u32_e64 v8, s[0:1], v10, v8
	v_addc_co_u32_e64 v9, s[0:1], v11, v9, s[0:1]
	global_load_dwordx2 v[14:15], v[8:9], off
	s_waitcnt vmcnt(0)
	v_mul_f64 v[14:15], s[28:29], v[14:15]
	s_waitcnt lgkmcnt(0)
	v_fmac_f64_e32 v[14:15], s[22:23], v[2:3]
	global_store_dwordx2 v[8:9], v[14:15], off
.LBB21_32:
	s_or_b64 exec, exec, s[2:3]
	s_waitcnt lgkmcnt(1)
	ds_bpermute_b32 v2, v12, v4
	s_waitcnt lgkmcnt(1)
	ds_bpermute_b32 v3, v12, v5
	v_or_b32_e32 v1, 8, v21
	v_cmp_lt_i32_e64 s[0:1], v1, v20
	s_and_b64 s[0:1], vcc, s[0:1]
	s_and_saveexec_b64 s[2:3], s[0:1]
	s_cbranch_execz .LBB21_34
; %bb.33:
	v_mad_u64_u32 v[4:5], s[0:1], v1, s4, v[0:1]
	v_ashrrev_i32_e32 v5, 31, v4
	v_lshlrev_b64 v[4:5], 3, v[4:5]
	v_add_co_u32_e64 v4, s[0:1], v10, v4
	v_addc_co_u32_e64 v5, s[0:1], v11, v5, s[0:1]
	global_load_dwordx2 v[8:9], v[4:5], off
	s_waitcnt vmcnt(0)
	v_mul_f64 v[8:9], s[28:29], v[8:9]
	s_waitcnt lgkmcnt(0)
	v_fmac_f64_e32 v[8:9], s[22:23], v[2:3]
	global_store_dwordx2 v[4:5], v[8:9], off
.LBB21_34:
	s_or_b64 exec, exec, s[2:3]
	s_waitcnt lgkmcnt(1)
	ds_bpermute_b32 v2, v12, v6
	s_waitcnt lgkmcnt(1)
	ds_bpermute_b32 v3, v12, v7
	v_or_b32_e32 v1, 12, v21
	v_cmp_lt_i32_e64 s[0:1], v1, v20
	s_and_b64 s[0:1], vcc, s[0:1]
	s_and_b64 exec, exec, s[0:1]
	s_cbranch_execz .LBB21_36
; %bb.35:
	v_mad_u64_u32 v[0:1], s[0:1], v1, s4, v[0:1]
	v_ashrrev_i32_e32 v1, 31, v0
	v_lshlrev_b64 v[0:1], 3, v[0:1]
	v_add_co_u32_e32 v0, vcc, v10, v0
	v_addc_co_u32_e32 v1, vcc, v11, v1, vcc
	global_load_dwordx2 v[4:5], v[0:1], off
	s_waitcnt vmcnt(0)
	v_mul_f64 v[4:5], s[28:29], v[4:5]
	s_waitcnt lgkmcnt(0)
	v_fmac_f64_e32 v[4:5], s[22:23], v[2:3]
	global_store_dwordx2 v[0:1], v[4:5], off
.LBB21_36:
	s_endpgm
	.section	.rodata,"a",@progbits
	.p2align	6, 0x0
	.amdhsa_kernel _ZN9rocsolver6v33100L16mfma_gemm_kernelIdiPKdPKPdS4_S4_EEv18rocblas_operation_S7_T0_S8_S8_T1_T2_lS8_S8_lT3_lS8_S8_lS9_T4_lS8_S8_l
		.amdhsa_group_segment_fixed_size 0
		.amdhsa_private_segment_fixed_size 0
		.amdhsa_kernarg_size 392
		.amdhsa_user_sgpr_count 6
		.amdhsa_user_sgpr_private_segment_buffer 1
		.amdhsa_user_sgpr_dispatch_ptr 0
		.amdhsa_user_sgpr_queue_ptr 0
		.amdhsa_user_sgpr_kernarg_segment_ptr 1
		.amdhsa_user_sgpr_dispatch_id 0
		.amdhsa_user_sgpr_flat_scratch_init 0
		.amdhsa_user_sgpr_kernarg_preload_length 0
		.amdhsa_user_sgpr_kernarg_preload_offset 0
		.amdhsa_user_sgpr_private_segment_size 0
		.amdhsa_uses_dynamic_stack 0
		.amdhsa_system_sgpr_private_segment_wavefront_offset 0
		.amdhsa_system_sgpr_workgroup_id_x 1
		.amdhsa_system_sgpr_workgroup_id_y 1
		.amdhsa_system_sgpr_workgroup_id_z 1
		.amdhsa_system_sgpr_workgroup_info 0
		.amdhsa_system_vgpr_workitem_id 1
		.amdhsa_next_free_vgpr 34
		.amdhsa_next_free_sgpr 40
		.amdhsa_accum_offset 36
		.amdhsa_reserve_vcc 1
		.amdhsa_reserve_flat_scratch 0
		.amdhsa_float_round_mode_32 0
		.amdhsa_float_round_mode_16_64 0
		.amdhsa_float_denorm_mode_32 3
		.amdhsa_float_denorm_mode_16_64 3
		.amdhsa_dx10_clamp 1
		.amdhsa_ieee_mode 1
		.amdhsa_fp16_overflow 0
		.amdhsa_tg_split 0
		.amdhsa_exception_fp_ieee_invalid_op 0
		.amdhsa_exception_fp_denorm_src 0
		.amdhsa_exception_fp_ieee_div_zero 0
		.amdhsa_exception_fp_ieee_overflow 0
		.amdhsa_exception_fp_ieee_underflow 0
		.amdhsa_exception_fp_ieee_inexact 0
		.amdhsa_exception_int_div_zero 0
	.end_amdhsa_kernel
	.section	.text._ZN9rocsolver6v33100L16mfma_gemm_kernelIdiPKdPKPdS4_S4_EEv18rocblas_operation_S7_T0_S8_S8_T1_T2_lS8_S8_lT3_lS8_S8_lS9_T4_lS8_S8_l,"axG",@progbits,_ZN9rocsolver6v33100L16mfma_gemm_kernelIdiPKdPKPdS4_S4_EEv18rocblas_operation_S7_T0_S8_S8_T1_T2_lS8_S8_lT3_lS8_S8_lS9_T4_lS8_S8_l,comdat
.Lfunc_end21:
	.size	_ZN9rocsolver6v33100L16mfma_gemm_kernelIdiPKdPKPdS4_S4_EEv18rocblas_operation_S7_T0_S8_S8_T1_T2_lS8_S8_lT3_lS8_S8_lS9_T4_lS8_S8_l, .Lfunc_end21-_ZN9rocsolver6v33100L16mfma_gemm_kernelIdiPKdPKPdS4_S4_EEv18rocblas_operation_S7_T0_S8_S8_T1_T2_lS8_S8_lT3_lS8_S8_lS9_T4_lS8_S8_l
                                        ; -- End function
	.section	.AMDGPU.csdata,"",@progbits
; Kernel info:
; codeLenInByte = 1724
; NumSgprs: 44
; NumVgprs: 34
; NumAgprs: 0
; TotalNumVgprs: 34
; ScratchSize: 0
; MemoryBound: 0
; FloatMode: 240
; IeeeMode: 1
; LDSByteSize: 0 bytes/workgroup (compile time only)
; SGPRBlocks: 5
; VGPRBlocks: 4
; NumSGPRsForWavesPerEU: 44
; NumVGPRsForWavesPerEU: 34
; AccumOffset: 36
; Occupancy: 8
; WaveLimiterHint : 1
; COMPUTE_PGM_RSRC2:SCRATCH_EN: 0
; COMPUTE_PGM_RSRC2:USER_SGPR: 6
; COMPUTE_PGM_RSRC2:TRAP_HANDLER: 0
; COMPUTE_PGM_RSRC2:TGID_X_EN: 1
; COMPUTE_PGM_RSRC2:TGID_Y_EN: 1
; COMPUTE_PGM_RSRC2:TGID_Z_EN: 1
; COMPUTE_PGM_RSRC2:TIDIG_COMP_CNT: 1
; COMPUTE_PGM_RSRC3_GFX90A:ACCUM_OFFSET: 8
; COMPUTE_PGM_RSRC3_GFX90A:TG_SPLIT: 0
	.section	.text._ZN9rocsolver6v33100L16mfma_gemm_kernelIdidPKPdS2_S2_EEv18rocblas_operation_S5_T0_S6_S6_T1_T2_lS6_S6_lT3_lS6_S6_lS7_T4_lS6_S6_l,"axG",@progbits,_ZN9rocsolver6v33100L16mfma_gemm_kernelIdidPKPdS2_S2_EEv18rocblas_operation_S5_T0_S6_S6_T1_T2_lS6_S6_lT3_lS6_S6_lS7_T4_lS6_S6_l,comdat
	.globl	_ZN9rocsolver6v33100L16mfma_gemm_kernelIdidPKPdS2_S2_EEv18rocblas_operation_S5_T0_S6_S6_T1_T2_lS6_S6_lT3_lS6_S6_lS7_T4_lS6_S6_l ; -- Begin function _ZN9rocsolver6v33100L16mfma_gemm_kernelIdidPKPdS2_S2_EEv18rocblas_operation_S5_T0_S6_S6_T1_T2_lS6_S6_lT3_lS6_S6_lS7_T4_lS6_S6_l
	.p2align	8
	.type	_ZN9rocsolver6v33100L16mfma_gemm_kernelIdidPKPdS2_S2_EEv18rocblas_operation_S5_T0_S6_S6_T1_T2_lS6_S6_lT3_lS6_S6_lS7_T4_lS6_S6_l,@function
_ZN9rocsolver6v33100L16mfma_gemm_kernelIdidPKPdS2_S2_EEv18rocblas_operation_S5_T0_S6_S6_T1_T2_lS6_S6_lT3_lS6_S6_lS7_T4_lS6_S6_l: ; @_ZN9rocsolver6v33100L16mfma_gemm_kernelIdidPKPdS2_S2_EEv18rocblas_operation_S5_T0_S6_S6_T1_T2_lS6_S6_lT3_lS6_S6_lS7_T4_lS6_S6_l
; %bb.0:
	s_load_dword s0, s[4:5], 0x94
	s_load_dwordx4 s[24:27], s[4:5], 0x0
	v_and_b32_e32 v22, 0x3ff, v0
	v_bfe_u32 v0, v0, 10, 10
	v_lshrrev_b32_e32 v1, 6, v22
	s_waitcnt lgkmcnt(0)
	s_lshr_b32 s1, s0, 16
	s_bfe_u32 s0, s0, 0xa0006
	s_mul_i32 s7, s7, s1
	s_mul_i32 s6, s6, s0
	v_add_u32_e32 v0, s7, v0
	v_add_lshl_u32 v23, s6, v1, 4
	v_lshlrev_b32_e32 v24, 4, v0
	v_cmp_gt_i32_e32 vcc, s26, v23
	v_cmp_gt_i32_e64 s[0:1], s27, v24
	s_and_b64 s[0:1], vcc, s[0:1]
	s_and_saveexec_b64 s[2:3], s[0:1]
	s_cbranch_execz .LBB22_36
; %bb.1:
	s_ashr_i32 s0, s26, 31
	s_lshr_b32 s0, s0, 28
	s_add_i32 s0, s26, s0
	s_and_b32 s0, s0, -16
	s_sub_i32 s0, s26, s0
	v_mov_b32_e32 v1, s0
	s_ashr_i32 s0, s27, 31
	s_lshr_b32 s0, s0, 28
	s_add_i32 s0, s27, s0
	v_add_u32_e32 v0, 16, v23
	s_and_b32 s0, s0, -16
	v_cmp_lt_i32_e32 vcc, s26, v0
	v_add_u32_e32 v0, 16, v24
	s_sub_i32 s0, s27, s0
	s_load_dword s28, s[4:5], 0x10
	s_load_dwordx4 s[20:23], s[4:5], 0x18
	s_load_dwordx2 s[2:3], s[4:5], 0x28
	s_load_dwordx8 s[12:19], s[4:5], 0x58
	v_cndmask_b32_e32 v20, 16, v1, vcc
	v_mov_b32_e32 v1, s0
	v_cmp_lt_i32_e32 vcc, s27, v0
	v_cndmask_b32_e32 v25, 16, v1, vcc
	s_ashr_i32 s9, s8, 31
	v_bfe_u32 v26, v22, 2, 4
	v_pk_mov_b32 v[6:7], 0, 0
	v_and_b32_e32 v21, 3, v22
	s_waitcnt lgkmcnt(0)
	s_cmp_lt_i32 s28, 1
	v_cmp_lt_i32_e64 s[0:1], v26, v25
	v_mbcnt_lo_u32_b32 v27, -1, 0
	v_pk_mov_b32 v[4:5], v[6:7], v[6:7] op_sel:[0,1]
	v_pk_mov_b32 v[2:3], v[6:7], v[6:7] op_sel:[0,1]
	v_pk_mov_b32 v[0:1], v[6:7], v[6:7] op_sel:[0,1]
	s_cbranch_scc1 .LBB22_28
; %bb.2:
	s_lshl_b64 s[6:7], s[8:9], 3
	s_add_u32 s6, s22, s6
	s_addc_u32 s7, s23, s7
	s_load_dwordx2 s[10:11], s[6:7], 0x0
	s_load_dwordx2 s[26:27], s[4:5], 0x30
	s_load_dwordx4 s[36:39], s[4:5], 0x40
	s_load_dwordx2 s[34:35], s[4:5], 0x50
	s_lshl_b64 s[2:3], s[2:3], 3
	s_waitcnt lgkmcnt(0)
	s_add_u32 s6, s10, s2
	s_addc_u32 s7, s11, s3
	s_mul_i32 s2, s8, s13
	s_mul_hi_u32 s3, s8, s12
	s_add_i32 s2, s3, s2
	s_mul_i32 s3, s9, s12
	s_add_i32 s3, s2, s3
	s_mul_i32 s2, s8, s12
	s_lshl_b64 s[2:3], s[2:3], 3
	s_add_u32 s10, s36, s2
	s_addc_u32 s11, s37, s3
	s_lshl_b64 s[2:3], s[38:39], 3
	s_add_u32 s2, s10, s2
	s_addc_u32 s3, s11, s3
	s_cmpk_lg_i32 s24, 0x6f
	s_cselect_b64 s[12:13], -1, 0
	s_cmpk_eq_i32 s24, 0x6f
	s_cselect_b32 s10, s26, s27
	v_mul_lo_u32 v0, v23, s10
	v_ashrrev_i32_e32 v1, 31, v0
	s_cmpk_lg_i32 s25, 0x6f
	v_lshlrev_b64 v[0:1], 3, v[0:1]
	s_cselect_b64 s[22:23], -1, 0
	s_cmpk_eq_i32 s25, 0x6f
	v_add_co_u32_e32 v28, vcc, s6, v0
	s_cselect_b32 s6, s35, s34
	v_mov_b32_e32 v3, s7
	v_mul_lo_u32 v0, v24, s6
	v_addc_co_u32_e32 v29, vcc, v3, v1, vcc
	v_ashrrev_i32_e32 v1, 31, v0
	v_lshlrev_b64 v[0:1], 3, v[0:1]
	v_mov_b32_e32 v3, s3
	v_add_co_u32_e32 v30, vcc, s2, v0
	v_and_b32_e32 v2, 63, v22
	v_addc_co_u32_e32 v31, vcc, v3, v1, vcc
	v_and_b32_e32 v1, 15, v22
	v_lshrrev_b32_e32 v32, 4, v2
	v_mul_lo_u32 v0, v1, s26
	v_lshl_or_b32 v3, v1, 2, v32
	v_mul_lo_u32 v2, v1, s34
	v_mad_u64_u32 v[8:9], s[24:25], s27, v32, v[0:1]
	v_mul_lo_u32 v0, s26, v21
	v_mad_u64_u32 v[10:11], s[24:25], v26, s27, v[0:1]
	;; [unrolled: 2-line block ×3, first 2 shown]
	v_mbcnt_hi_u32_b32 v2, -1, v27
	v_cmp_lt_i32_e64 s[6:7], v1, v20
	v_cmp_lt_i32_e64 s[10:11], v1, v25
	v_mad_u64_u32 v[12:13], s[24:25], v26, s35, v[0:1]
	v_pk_mov_b32 v[0:1], 0, 0
	v_and_or_b32 v2, v2, 64, v3
	v_cmp_lt_i32_e64 s[2:3], v26, v20
	s_lshl_b32 s29, s27, 2
	s_lshl_b32 s30, s26, 2
	;; [unrolled: 1-line block ×4, first 2 shown]
	s_mov_b32 s34, 0
	v_lshlrev_b32_e32 v33, 2, v2
	v_pk_mov_b32 v[2:3], v[0:1], v[0:1] op_sel:[0,1]
	v_pk_mov_b32 v[4:5], v[0:1], v[0:1] op_sel:[0,1]
	;; [unrolled: 1-line block ×3, first 2 shown]
	s_branch .LBB22_6
.LBB22_3:                               ;   in Loop: Header=BB22_6 Depth=1
	s_or_b64 exec, exec, s[26:27]
.LBB22_4:                               ;   in Loop: Header=BB22_6 Depth=1
	s_or_b64 exec, exec, s[24:25]
	s_waitcnt vmcnt(0)
	ds_bpermute_b32 v18, v33, v18
	ds_bpermute_b32 v19, v33, v19
.LBB22_5:                               ;   in Loop: Header=BB22_6 Depth=1
	s_waitcnt vmcnt(0) lgkmcnt(0)
	v_mfma_f64_16x16x4f64 v[0:7], v[16:17], v[18:19], v[0:7]
	s_add_i32 s34, s34, 4
	s_cmp_ge_i32 s34, s28
	v_add_u32_e32 v8, s29, v8
	v_add_u32_e32 v10, s30, v10
	;; [unrolled: 1-line block ×4, first 2 shown]
	s_cbranch_scc1 .LBB22_28
.LBB22_6:                               ; =>This Inner Loop Header: Depth=1
	s_and_b64 vcc, exec, s[12:13]
	s_cbranch_vccz .LBB22_18
; %bb.7:                                ;   in Loop: Header=BB22_6 Depth=1
	v_pk_mov_b32 v[16:17], 0, 0
	s_and_saveexec_b64 s[24:25], s[2:3]
	s_cbranch_execz .LBB22_11
; %bb.8:                                ;   in Loop: Header=BB22_6 Depth=1
	v_add_u32_e32 v9, s34, v21
	v_cmp_gt_i32_e32 vcc, s28, v9
	v_pk_mov_b32 v[16:17], 0, 0
	s_and_saveexec_b64 s[26:27], vcc
	s_cbranch_execz .LBB22_10
; %bb.9:                                ;   in Loop: Header=BB22_6 Depth=1
	v_ashrrev_i32_e32 v11, 31, v10
	v_lshlrev_b64 v[16:17], 3, v[10:11]
	v_add_co_u32_e32 v16, vcc, v28, v16
	v_addc_co_u32_e32 v17, vcc, v29, v17, vcc
	global_load_dwordx2 v[16:17], v[16:17], off
.LBB22_10:                              ;   in Loop: Header=BB22_6 Depth=1
	s_or_b64 exec, exec, s[26:27]
.LBB22_11:                              ;   in Loop: Header=BB22_6 Depth=1
	s_or_b64 exec, exec, s[24:25]
	s_waitcnt vmcnt(0)
	ds_bpermute_b32 v16, v33, v16
	ds_bpermute_b32 v17, v33, v17
.LBB22_12:                              ;   in Loop: Header=BB22_6 Depth=1
	s_and_b64 vcc, exec, s[22:23]
	s_cbranch_vccz .LBB22_24
.LBB22_13:                              ;   in Loop: Header=BB22_6 Depth=1
	v_pk_mov_b32 v[18:19], 0, 0
	s_and_saveexec_b64 s[24:25], s[10:11]
	s_cbranch_execz .LBB22_17
; %bb.14:                               ;   in Loop: Header=BB22_6 Depth=1
	v_add_u32_e32 v9, s34, v32
	v_cmp_gt_i32_e32 vcc, s28, v9
	v_pk_mov_b32 v[18:19], 0, 0
	s_and_saveexec_b64 s[26:27], vcc
	s_cbranch_execz .LBB22_16
; %bb.15:                               ;   in Loop: Header=BB22_6 Depth=1
	v_ashrrev_i32_e32 v15, 31, v14
	v_lshlrev_b64 v[18:19], 3, v[14:15]
	v_add_co_u32_e32 v18, vcc, v30, v18
	v_addc_co_u32_e32 v19, vcc, v31, v19, vcc
	global_load_dwordx2 v[18:19], v[18:19], off
.LBB22_16:                              ;   in Loop: Header=BB22_6 Depth=1
	s_or_b64 exec, exec, s[26:27]
.LBB22_17:                              ;   in Loop: Header=BB22_6 Depth=1
	s_or_b64 exec, exec, s[24:25]
	s_cbranch_execnz .LBB22_5
	s_branch .LBB22_25
.LBB22_18:                              ;   in Loop: Header=BB22_6 Depth=1
                                        ; implicit-def: $vgpr16_vgpr17
	s_cbranch_execz .LBB22_12
; %bb.19:                               ;   in Loop: Header=BB22_6 Depth=1
	s_waitcnt lgkmcnt(0)
	v_pk_mov_b32 v[16:17], 0, 0
	s_and_saveexec_b64 s[24:25], s[6:7]
	s_cbranch_execz .LBB22_23
; %bb.20:                               ;   in Loop: Header=BB22_6 Depth=1
	v_add_u32_e32 v9, s34, v32
	v_cmp_gt_i32_e32 vcc, s28, v9
	v_pk_mov_b32 v[16:17], 0, 0
	s_and_saveexec_b64 s[26:27], vcc
	s_cbranch_execz .LBB22_22
; %bb.21:                               ;   in Loop: Header=BB22_6 Depth=1
	v_ashrrev_i32_e32 v9, 31, v8
	v_lshlrev_b64 v[16:17], 3, v[8:9]
	v_add_co_u32_e32 v16, vcc, v28, v16
	v_addc_co_u32_e32 v17, vcc, v29, v17, vcc
	global_load_dwordx2 v[16:17], v[16:17], off
.LBB22_22:                              ;   in Loop: Header=BB22_6 Depth=1
	s_or_b64 exec, exec, s[26:27]
.LBB22_23:                              ;   in Loop: Header=BB22_6 Depth=1
	s_or_b64 exec, exec, s[24:25]
	s_and_b64 vcc, exec, s[22:23]
	s_cbranch_vccnz .LBB22_13
.LBB22_24:                              ;   in Loop: Header=BB22_6 Depth=1
                                        ; implicit-def: $vgpr18_vgpr19
.LBB22_25:                              ;   in Loop: Header=BB22_6 Depth=1
	s_waitcnt vmcnt(0)
	v_pk_mov_b32 v[18:19], 0, 0
	s_and_saveexec_b64 s[24:25], s[0:1]
	s_cbranch_execz .LBB22_4
; %bb.26:                               ;   in Loop: Header=BB22_6 Depth=1
	v_add_u32_e32 v9, s34, v21
	v_cmp_gt_i32_e32 vcc, s28, v9
	v_pk_mov_b32 v[18:19], 0, 0
	s_and_saveexec_b64 s[26:27], vcc
	s_cbranch_execz .LBB22_3
; %bb.27:                               ;   in Loop: Header=BB22_6 Depth=1
	v_ashrrev_i32_e32 v13, 31, v12
	v_lshlrev_b64 v[18:19], 3, v[12:13]
	v_add_co_u32_e32 v18, vcc, v30, v18
	v_addc_co_u32_e32 v19, vcc, v31, v19, vcc
	global_load_dwordx2 v[18:19], v[18:19], off
	s_branch .LBB22_3
.LBB22_28:
	s_load_dwordx4 s[4:7], s[4:5], 0x78
	s_waitcnt lgkmcnt(0)
	s_mul_i32 s1, s8, s7
	s_mul_hi_u32 s2, s8, s6
	s_mul_i32 s3, s9, s6
	s_add_i32 s1, s2, s1
	s_mul_i32 s0, s8, s6
	s_add_i32 s1, s1, s3
	s_lshl_b64 s[0:1], s[0:1], 3
	s_add_u32 s2, s16, s0
	s_addc_u32 s3, s17, s1
	s_lshl_b64 s[0:1], s[18:19], 3
	s_add_u32 s2, s2, s0
	v_mul_lo_u32 v8, v23, s4
	s_addc_u32 s3, s3, s1
	v_mad_u64_u32 v[8:9], s[0:1], v24, s5, v[8:9]
	v_ashrrev_i32_e32 v9, 31, v8
	v_lshlrev_b64 v[8:9], 3, v[8:9]
	v_mov_b32_e32 v11, s3
	v_add_co_u32_e32 v10, vcc, s2, v8
	v_addc_co_u32_e32 v11, vcc, v11, v9, vcc
	v_lshlrev_b32_e32 v8, 4, v22
	v_mbcnt_hi_u32_b32 v9, -1, v27
	v_and_b32_e32 v8, 48, v8
	v_and_b32_e32 v9, 64, v9
	v_or3_b32 v8, v8, v9, v26
	v_lshlrev_b32_e32 v12, 2, v8
	ds_bpermute_b32 v8, v12, v0
	ds_bpermute_b32 v9, v12, v1
	v_cmp_lt_i32_e32 vcc, v26, v25
	v_cmp_lt_i32_e64 s[0:1], v21, v20
	v_mul_lo_u32 v0, v26, s5
	s_and_b64 s[0:1], vcc, s[0:1]
	s_and_saveexec_b64 s[2:3], s[0:1]
	s_cbranch_execz .LBB22_30
; %bb.29:
	v_mad_u64_u32 v[14:15], s[0:1], v21, s4, v[0:1]
	v_ashrrev_i32_e32 v15, 31, v14
	v_lshlrev_b64 v[14:15], 3, v[14:15]
	v_add_co_u32_e64 v14, s[0:1], v10, v14
	v_addc_co_u32_e64 v15, s[0:1], v11, v15, s[0:1]
	global_load_dwordx2 v[16:17], v[14:15], off
	s_waitcnt vmcnt(0)
	v_mul_f64 v[16:17], v[16:17], s[14:15]
	s_waitcnt lgkmcnt(0)
	v_fmac_f64_e32 v[16:17], s[20:21], v[8:9]
	global_store_dwordx2 v[14:15], v[16:17], off
.LBB22_30:
	s_or_b64 exec, exec, s[2:3]
	ds_bpermute_b32 v2, v12, v2
	ds_bpermute_b32 v3, v12, v3
	v_or_b32_e32 v1, 4, v21
	v_cmp_lt_i32_e64 s[0:1], v1, v20
	s_and_b64 s[0:1], vcc, s[0:1]
	s_and_saveexec_b64 s[2:3], s[0:1]
	s_cbranch_execz .LBB22_32
; %bb.31:
	s_waitcnt lgkmcnt(2)
	v_mad_u64_u32 v[8:9], s[0:1], v1, s4, v[0:1]
	v_ashrrev_i32_e32 v9, 31, v8
	v_lshlrev_b64 v[8:9], 3, v[8:9]
	v_add_co_u32_e64 v8, s[0:1], v10, v8
	v_addc_co_u32_e64 v9, s[0:1], v11, v9, s[0:1]
	global_load_dwordx2 v[14:15], v[8:9], off
	s_waitcnt vmcnt(0)
	v_mul_f64 v[14:15], v[14:15], s[14:15]
	s_waitcnt lgkmcnt(0)
	v_fmac_f64_e32 v[14:15], s[20:21], v[2:3]
	global_store_dwordx2 v[8:9], v[14:15], off
.LBB22_32:
	s_or_b64 exec, exec, s[2:3]
	s_waitcnt lgkmcnt(1)
	ds_bpermute_b32 v2, v12, v4
	s_waitcnt lgkmcnt(1)
	ds_bpermute_b32 v3, v12, v5
	v_or_b32_e32 v1, 8, v21
	v_cmp_lt_i32_e64 s[0:1], v1, v20
	s_and_b64 s[0:1], vcc, s[0:1]
	s_and_saveexec_b64 s[2:3], s[0:1]
	s_cbranch_execz .LBB22_34
; %bb.33:
	v_mad_u64_u32 v[4:5], s[0:1], v1, s4, v[0:1]
	v_ashrrev_i32_e32 v5, 31, v4
	v_lshlrev_b64 v[4:5], 3, v[4:5]
	v_add_co_u32_e64 v4, s[0:1], v10, v4
	v_addc_co_u32_e64 v5, s[0:1], v11, v5, s[0:1]
	global_load_dwordx2 v[8:9], v[4:5], off
	s_waitcnt vmcnt(0)
	v_mul_f64 v[8:9], v[8:9], s[14:15]
	s_waitcnt lgkmcnt(0)
	v_fmac_f64_e32 v[8:9], s[20:21], v[2:3]
	global_store_dwordx2 v[4:5], v[8:9], off
.LBB22_34:
	s_or_b64 exec, exec, s[2:3]
	s_waitcnt lgkmcnt(1)
	ds_bpermute_b32 v2, v12, v6
	s_waitcnt lgkmcnt(1)
	ds_bpermute_b32 v3, v12, v7
	v_or_b32_e32 v1, 12, v21
	v_cmp_lt_i32_e64 s[0:1], v1, v20
	s_and_b64 s[0:1], vcc, s[0:1]
	s_and_b64 exec, exec, s[0:1]
	s_cbranch_execz .LBB22_36
; %bb.35:
	v_mad_u64_u32 v[0:1], s[0:1], v1, s4, v[0:1]
	v_ashrrev_i32_e32 v1, 31, v0
	v_lshlrev_b64 v[0:1], 3, v[0:1]
	v_add_co_u32_e32 v0, vcc, v10, v0
	v_addc_co_u32_e32 v1, vcc, v11, v1, vcc
	global_load_dwordx2 v[4:5], v[0:1], off
	s_waitcnt vmcnt(0)
	v_mul_f64 v[4:5], v[4:5], s[14:15]
	s_waitcnt lgkmcnt(0)
	v_fmac_f64_e32 v[4:5], s[20:21], v[2:3]
	global_store_dwordx2 v[0:1], v[4:5], off
.LBB22_36:
	s_endpgm
	.section	.rodata,"a",@progbits
	.p2align	6, 0x0
	.amdhsa_kernel _ZN9rocsolver6v33100L16mfma_gemm_kernelIdidPKPdS2_S2_EEv18rocblas_operation_S5_T0_S6_S6_T1_T2_lS6_S6_lT3_lS6_S6_lS7_T4_lS6_S6_l
		.amdhsa_group_segment_fixed_size 0
		.amdhsa_private_segment_fixed_size 0
		.amdhsa_kernarg_size 392
		.amdhsa_user_sgpr_count 6
		.amdhsa_user_sgpr_private_segment_buffer 1
		.amdhsa_user_sgpr_dispatch_ptr 0
		.amdhsa_user_sgpr_queue_ptr 0
		.amdhsa_user_sgpr_kernarg_segment_ptr 1
		.amdhsa_user_sgpr_dispatch_id 0
		.amdhsa_user_sgpr_flat_scratch_init 0
		.amdhsa_user_sgpr_kernarg_preload_length 0
		.amdhsa_user_sgpr_kernarg_preload_offset 0
		.amdhsa_user_sgpr_private_segment_size 0
		.amdhsa_uses_dynamic_stack 0
		.amdhsa_system_sgpr_private_segment_wavefront_offset 0
		.amdhsa_system_sgpr_workgroup_id_x 1
		.amdhsa_system_sgpr_workgroup_id_y 1
		.amdhsa_system_sgpr_workgroup_id_z 1
		.amdhsa_system_sgpr_workgroup_info 0
		.amdhsa_system_vgpr_workitem_id 1
		.amdhsa_next_free_vgpr 34
		.amdhsa_next_free_sgpr 40
		.amdhsa_accum_offset 36
		.amdhsa_reserve_vcc 1
		.amdhsa_reserve_flat_scratch 0
		.amdhsa_float_round_mode_32 0
		.amdhsa_float_round_mode_16_64 0
		.amdhsa_float_denorm_mode_32 3
		.amdhsa_float_denorm_mode_16_64 3
		.amdhsa_dx10_clamp 1
		.amdhsa_ieee_mode 1
		.amdhsa_fp16_overflow 0
		.amdhsa_tg_split 0
		.amdhsa_exception_fp_ieee_invalid_op 0
		.amdhsa_exception_fp_denorm_src 0
		.amdhsa_exception_fp_ieee_div_zero 0
		.amdhsa_exception_fp_ieee_overflow 0
		.amdhsa_exception_fp_ieee_underflow 0
		.amdhsa_exception_fp_ieee_inexact 0
		.amdhsa_exception_int_div_zero 0
	.end_amdhsa_kernel
	.section	.text._ZN9rocsolver6v33100L16mfma_gemm_kernelIdidPKPdS2_S2_EEv18rocblas_operation_S5_T0_S6_S6_T1_T2_lS6_S6_lT3_lS6_S6_lS7_T4_lS6_S6_l,"axG",@progbits,_ZN9rocsolver6v33100L16mfma_gemm_kernelIdidPKPdS2_S2_EEv18rocblas_operation_S5_T0_S6_S6_T1_T2_lS6_S6_lT3_lS6_S6_lS7_T4_lS6_S6_l,comdat
.Lfunc_end22:
	.size	_ZN9rocsolver6v33100L16mfma_gemm_kernelIdidPKPdS2_S2_EEv18rocblas_operation_S5_T0_S6_S6_T1_T2_lS6_S6_lT3_lS6_S6_lS7_T4_lS6_S6_l, .Lfunc_end22-_ZN9rocsolver6v33100L16mfma_gemm_kernelIdidPKPdS2_S2_EEv18rocblas_operation_S5_T0_S6_S6_T1_T2_lS6_S6_lT3_lS6_S6_lS7_T4_lS6_S6_l
                                        ; -- End function
	.section	.AMDGPU.csdata,"",@progbits
; Kernel info:
; codeLenInByte = 1716
; NumSgprs: 44
; NumVgprs: 34
; NumAgprs: 0
; TotalNumVgprs: 34
; ScratchSize: 0
; MemoryBound: 0
; FloatMode: 240
; IeeeMode: 1
; LDSByteSize: 0 bytes/workgroup (compile time only)
; SGPRBlocks: 5
; VGPRBlocks: 4
; NumSGPRsForWavesPerEU: 44
; NumVGPRsForWavesPerEU: 34
; AccumOffset: 36
; Occupancy: 8
; WaveLimiterHint : 1
; COMPUTE_PGM_RSRC2:SCRATCH_EN: 0
; COMPUTE_PGM_RSRC2:USER_SGPR: 6
; COMPUTE_PGM_RSRC2:TRAP_HANDLER: 0
; COMPUTE_PGM_RSRC2:TGID_X_EN: 1
; COMPUTE_PGM_RSRC2:TGID_Y_EN: 1
; COMPUTE_PGM_RSRC2:TGID_Z_EN: 1
; COMPUTE_PGM_RSRC2:TIDIG_COMP_CNT: 1
; COMPUTE_PGM_RSRC3_GFX90A:ACCUM_OFFSET: 8
; COMPUTE_PGM_RSRC3_GFX90A:TG_SPLIT: 0
	.section	.text._ZN9rocsolver6v33100L11gemm_kernelIdiPKdPKPdS4_S4_EEvT0_S7_S7_T1_bT2_lS7_S7_lbT3_lS7_S7_lS8_T4_lS7_S7_l,"axG",@progbits,_ZN9rocsolver6v33100L11gemm_kernelIdiPKdPKPdS4_S4_EEvT0_S7_S7_T1_bT2_lS7_S7_lbT3_lS7_S7_lS8_T4_lS7_S7_l,comdat
	.globl	_ZN9rocsolver6v33100L11gemm_kernelIdiPKdPKPdS4_S4_EEvT0_S7_S7_T1_bT2_lS7_S7_lbT3_lS7_S7_lS8_T4_lS7_S7_l ; -- Begin function _ZN9rocsolver6v33100L11gemm_kernelIdiPKdPKPdS4_S4_EEvT0_S7_S7_T1_bT2_lS7_S7_lbT3_lS7_S7_lS8_T4_lS7_S7_l
	.p2align	8
	.type	_ZN9rocsolver6v33100L11gemm_kernelIdiPKdPKPdS4_S4_EEvT0_S7_S7_T1_bT2_lS7_S7_lbT3_lS7_S7_lS8_T4_lS7_S7_l,@function
_ZN9rocsolver6v33100L11gemm_kernelIdiPKdPKPdS4_S4_EEvT0_S7_S7_T1_bT2_lS7_S7_lbT3_lS7_S7_lS8_T4_lS7_S7_l: ; @_ZN9rocsolver6v33100L11gemm_kernelIdiPKdPKPdS4_S4_EEvT0_S7_S7_T1_bT2_lS7_S7_lbT3_lS7_S7_lS8_T4_lS7_S7_l
; %bb.0:
	s_load_dword s9, s[4:5], 0x9c
	s_load_dwordx4 s[0:3], s[4:5], 0x0
	v_and_b32_e32 v1, 0x3ff, v0
	v_bfe_u32 v0, v0, 10, 10
	s_waitcnt lgkmcnt(0)
	s_and_b32 s3, s9, 0xffff
	s_lshr_b32 s9, s9, 16
	s_mul_i32 s7, s7, s9
	s_mul_i32 s6, s6, s3
	v_add_u32_e32 v6, s6, v1
	v_add_u32_e32 v7, s7, v0
	v_cmp_gt_i32_e32 vcc, s0, v6
	v_cmp_gt_i32_e64 s[0:1], s1, v7
	s_and_b64 s[0:1], vcc, s[0:1]
	s_and_saveexec_b64 s[6:7], s[0:1]
	s_cbranch_execz .LBB23_6
; %bb.1:
	s_load_dwordx2 s[0:1], s[4:5], 0x10
	s_load_dwordx8 s[12:19], s[4:5], 0x60
	s_ashr_i32 s9, s8, 31
	s_cmp_lt_i32 s2, 1
	s_cbranch_scc1 .LBB23_4
; %bb.2:
	s_load_dwordx4 s[20:23], s[4:5], 0x20
	s_load_dwordx2 s[10:11], s[4:5], 0x30
	s_load_dwordx4 s[24:27], s[4:5], 0x48
	s_load_dwordx2 s[6:7], s[4:5], 0x58
	s_lshl_b64 s[28:29], s[8:9], 3
	s_waitcnt lgkmcnt(0)
	s_add_u32 s20, s20, s28
	s_mul_i32 s3, s12, s9
	s_addc_u32 s21, s21, s29
	v_mul_lo_u32 v2, v7, s7
	s_mul_hi_u32 s7, s12, s8
	s_add_i32 s3, s7, s3
	s_mul_i32 s7, s13, s8
	s_add_i32 s13, s3, s7
	s_mul_i32 s12, s12, s8
	s_lshl_b64 s[12:13], s[12:13], 3
	s_lshl_b64 s[26:27], s[26:27], 3
	s_add_u32 s3, s12, s26
	s_load_dwordx2 s[20:21], s[20:21], 0x0
	s_addc_u32 s7, s13, s27
	s_add_u32 s3, s24, s3
	v_ashrrev_i32_e32 v3, 31, v2
	s_addc_u32 s7, s25, s7
	v_lshlrev_b64 v[2:3], 3, v[2:3]
	v_mov_b32_e32 v1, s7
	s_ashr_i32 s7, s6, 31
	v_mul_lo_u32 v0, v6, s10
	v_add_co_u32_e32 v2, vcc, s3, v2
	s_lshl_b64 s[6:7], s[6:7], 3
	s_lshl_b64 s[12:13], s[22:23], 3
	v_addc_co_u32_e32 v3, vcc, v1, v3, vcc
	v_ashrrev_i32_e32 v1, 31, v0
	s_waitcnt lgkmcnt(0)
	s_add_u32 s3, s20, s12
	v_lshlrev_b64 v[0:1], 3, v[0:1]
	s_addc_u32 s10, s21, s13
	s_ashr_i32 s13, s11, 31
	s_mov_b32 s12, s11
	v_mov_b32_e32 v5, s10
	v_add_co_u32_e32 v4, vcc, s3, v0
	s_lshl_b64 s[10:11], s[12:13], 3
	v_addc_co_u32_e32 v5, vcc, v5, v1, vcc
	v_pk_mov_b32 v[0:1], 0, 0
	v_mov_b32_e32 v8, s7
	v_mov_b32_e32 v9, s11
.LBB23_3:                               ; =>This Inner Loop Header: Depth=1
	global_load_dwordx2 v[10:11], v[4:5], off
	global_load_dwordx2 v[12:13], v[2:3], off
	v_add_co_u32_e32 v2, vcc, s6, v2
	v_addc_co_u32_e32 v3, vcc, v3, v8, vcc
	v_add_co_u32_e32 v4, vcc, s10, v4
	s_add_i32 s2, s2, -1
	v_addc_co_u32_e32 v5, vcc, v5, v9, vcc
	s_cmp_eq_u32 s2, 0
	s_waitcnt vmcnt(0)
	v_fmac_f64_e32 v[0:1], v[10:11], v[12:13]
	s_cbranch_scc0 .LBB23_3
	s_branch .LBB23_5
.LBB23_4:
	v_pk_mov_b32 v[0:1], 0, 0
.LBB23_5:
	s_waitcnt lgkmcnt(0)
	s_load_dwordx2 s[2:3], s[0:1], 0x0
	s_load_dwordx2 s[6:7], s[14:15], 0x0
                                        ; kill: killed $sgpr0_sgpr1
                                        ; kill: killed $sgpr14_sgpr15
	s_nop 0
	s_load_dwordx4 s[12:15], s[4:5], 0x80
	s_waitcnt lgkmcnt(0)
	s_mul_i32 s1, s8, s15
	s_mul_hi_u32 s4, s8, s14
	s_mul_i32 s5, s9, s14
	s_add_i32 s1, s4, s1
	s_mul_i32 s0, s8, s14
	s_add_i32 s1, s1, s5
	s_lshl_b64 s[0:1], s[0:1], 3
	s_add_u32 s4, s16, s0
	s_addc_u32 s5, s17, s1
	s_lshl_b64 s[0:1], s[18:19], 3
	s_add_u32 s4, s4, s0
	v_mul_lo_u32 v2, v6, s12
	s_addc_u32 s5, s5, s1
	v_mad_u64_u32 v[2:3], s[0:1], v7, s13, v[2:3]
	v_ashrrev_i32_e32 v3, 31, v2
	v_lshlrev_b64 v[2:3], 3, v[2:3]
	v_mov_b32_e32 v4, s5
	v_add_co_u32_e32 v2, vcc, s4, v2
	v_addc_co_u32_e32 v3, vcc, v4, v3, vcc
	global_load_dwordx2 v[4:5], v[2:3], off
	s_waitcnt vmcnt(0)
	v_mul_f64 v[4:5], s[6:7], v[4:5]
	v_fmac_f64_e32 v[4:5], s[2:3], v[0:1]
	global_store_dwordx2 v[2:3], v[4:5], off
.LBB23_6:
	s_endpgm
	.section	.rodata,"a",@progbits
	.p2align	6, 0x0
	.amdhsa_kernel _ZN9rocsolver6v33100L11gemm_kernelIdiPKdPKPdS4_S4_EEvT0_S7_S7_T1_bT2_lS7_S7_lbT3_lS7_S7_lS8_T4_lS7_S7_l
		.amdhsa_group_segment_fixed_size 0
		.amdhsa_private_segment_fixed_size 0
		.amdhsa_kernarg_size 400
		.amdhsa_user_sgpr_count 6
		.amdhsa_user_sgpr_private_segment_buffer 1
		.amdhsa_user_sgpr_dispatch_ptr 0
		.amdhsa_user_sgpr_queue_ptr 0
		.amdhsa_user_sgpr_kernarg_segment_ptr 1
		.amdhsa_user_sgpr_dispatch_id 0
		.amdhsa_user_sgpr_flat_scratch_init 0
		.amdhsa_user_sgpr_kernarg_preload_length 0
		.amdhsa_user_sgpr_kernarg_preload_offset 0
		.amdhsa_user_sgpr_private_segment_size 0
		.amdhsa_uses_dynamic_stack 0
		.amdhsa_system_sgpr_private_segment_wavefront_offset 0
		.amdhsa_system_sgpr_workgroup_id_x 1
		.amdhsa_system_sgpr_workgroup_id_y 1
		.amdhsa_system_sgpr_workgroup_id_z 1
		.amdhsa_system_sgpr_workgroup_info 0
		.amdhsa_system_vgpr_workitem_id 1
		.amdhsa_next_free_vgpr 14
		.amdhsa_next_free_sgpr 30
		.amdhsa_accum_offset 16
		.amdhsa_reserve_vcc 1
		.amdhsa_reserve_flat_scratch 0
		.amdhsa_float_round_mode_32 0
		.amdhsa_float_round_mode_16_64 0
		.amdhsa_float_denorm_mode_32 3
		.amdhsa_float_denorm_mode_16_64 3
		.amdhsa_dx10_clamp 1
		.amdhsa_ieee_mode 1
		.amdhsa_fp16_overflow 0
		.amdhsa_tg_split 0
		.amdhsa_exception_fp_ieee_invalid_op 0
		.amdhsa_exception_fp_denorm_src 0
		.amdhsa_exception_fp_ieee_div_zero 0
		.amdhsa_exception_fp_ieee_overflow 0
		.amdhsa_exception_fp_ieee_underflow 0
		.amdhsa_exception_fp_ieee_inexact 0
		.amdhsa_exception_int_div_zero 0
	.end_amdhsa_kernel
	.section	.text._ZN9rocsolver6v33100L11gemm_kernelIdiPKdPKPdS4_S4_EEvT0_S7_S7_T1_bT2_lS7_S7_lbT3_lS7_S7_lS8_T4_lS7_S7_l,"axG",@progbits,_ZN9rocsolver6v33100L11gemm_kernelIdiPKdPKPdS4_S4_EEvT0_S7_S7_T1_bT2_lS7_S7_lbT3_lS7_S7_lS8_T4_lS7_S7_l,comdat
.Lfunc_end23:
	.size	_ZN9rocsolver6v33100L11gemm_kernelIdiPKdPKPdS4_S4_EEvT0_S7_S7_T1_bT2_lS7_S7_lbT3_lS7_S7_lS8_T4_lS7_S7_l, .Lfunc_end23-_ZN9rocsolver6v33100L11gemm_kernelIdiPKdPKPdS4_S4_EEvT0_S7_S7_T1_bT2_lS7_S7_lbT3_lS7_S7_lS8_T4_lS7_S7_l
                                        ; -- End function
	.section	.AMDGPU.csdata,"",@progbits
; Kernel info:
; codeLenInByte = 560
; NumSgprs: 34
; NumVgprs: 14
; NumAgprs: 0
; TotalNumVgprs: 14
; ScratchSize: 0
; MemoryBound: 0
; FloatMode: 240
; IeeeMode: 1
; LDSByteSize: 0 bytes/workgroup (compile time only)
; SGPRBlocks: 4
; VGPRBlocks: 1
; NumSGPRsForWavesPerEU: 34
; NumVGPRsForWavesPerEU: 14
; AccumOffset: 16
; Occupancy: 8
; WaveLimiterHint : 1
; COMPUTE_PGM_RSRC2:SCRATCH_EN: 0
; COMPUTE_PGM_RSRC2:USER_SGPR: 6
; COMPUTE_PGM_RSRC2:TRAP_HANDLER: 0
; COMPUTE_PGM_RSRC2:TGID_X_EN: 1
; COMPUTE_PGM_RSRC2:TGID_Y_EN: 1
; COMPUTE_PGM_RSRC2:TGID_Z_EN: 1
; COMPUTE_PGM_RSRC2:TIDIG_COMP_CNT: 1
; COMPUTE_PGM_RSRC3_GFX90A:ACCUM_OFFSET: 3
; COMPUTE_PGM_RSRC3_GFX90A:TG_SPLIT: 0
	.section	.text._ZN9rocsolver6v33100L11gemm_kernelIdidPKPdS2_S2_EEvT0_S5_S5_T1_bT2_lS5_S5_lbT3_lS5_S5_lS6_T4_lS5_S5_l,"axG",@progbits,_ZN9rocsolver6v33100L11gemm_kernelIdidPKPdS2_S2_EEvT0_S5_S5_T1_bT2_lS5_S5_lbT3_lS5_S5_lS6_T4_lS5_S5_l,comdat
	.globl	_ZN9rocsolver6v33100L11gemm_kernelIdidPKPdS2_S2_EEvT0_S5_S5_T1_bT2_lS5_S5_lbT3_lS5_S5_lS6_T4_lS5_S5_l ; -- Begin function _ZN9rocsolver6v33100L11gemm_kernelIdidPKPdS2_S2_EEvT0_S5_S5_T1_bT2_lS5_S5_lbT3_lS5_S5_lS6_T4_lS5_S5_l
	.p2align	8
	.type	_ZN9rocsolver6v33100L11gemm_kernelIdidPKPdS2_S2_EEvT0_S5_S5_T1_bT2_lS5_S5_lbT3_lS5_S5_lS6_T4_lS5_S5_l,@function
_ZN9rocsolver6v33100L11gemm_kernelIdidPKPdS2_S2_EEvT0_S5_S5_T1_bT2_lS5_S5_lbT3_lS5_S5_lS6_T4_lS5_S5_l: ; @_ZN9rocsolver6v33100L11gemm_kernelIdidPKPdS2_S2_EEvT0_S5_S5_T1_bT2_lS5_S5_lbT3_lS5_S5_lS6_T4_lS5_S5_l
; %bb.0:
	s_load_dword s9, s[4:5], 0x9c
	s_load_dwordx4 s[0:3], s[4:5], 0x0
	v_and_b32_e32 v1, 0x3ff, v0
	v_bfe_u32 v0, v0, 10, 10
	s_waitcnt lgkmcnt(0)
	s_and_b32 s3, s9, 0xffff
	s_lshr_b32 s9, s9, 16
	s_mul_i32 s7, s7, s9
	s_mul_i32 s6, s6, s3
	v_add_u32_e32 v6, s6, v1
	v_add_u32_e32 v7, s7, v0
	v_cmp_gt_i32_e32 vcc, s0, v6
	v_cmp_gt_i32_e64 s[0:1], s1, v7
	s_and_b64 s[0:1], vcc, s[0:1]
	s_and_saveexec_b64 s[6:7], s[0:1]
	s_cbranch_execz .LBB24_6
; %bb.1:
	s_load_dwordx8 s[12:19], s[4:5], 0x60
	s_ashr_i32 s9, s8, 31
	s_cmp_lt_i32 s2, 1
	s_cbranch_scc1 .LBB24_4
; %bb.2:
	s_load_dwordx4 s[20:23], s[4:5], 0x20
	s_load_dwordx2 s[6:7], s[4:5], 0x30
	s_load_dwordx4 s[24:27], s[4:5], 0x48
	s_load_dwordx2 s[0:1], s[4:5], 0x58
	s_lshl_b64 s[10:11], s[8:9], 3
	s_waitcnt lgkmcnt(0)
	s_add_u32 s10, s20, s10
	s_mul_hi_u32 s3, s12, s8
	s_addc_u32 s11, s21, s11
	v_mul_lo_u32 v2, v7, s1
	s_mul_i32 s1, s12, s9
	s_add_i32 s1, s3, s1
	s_mul_i32 s3, s13, s8
	s_add_i32 s13, s1, s3
	s_mul_i32 s12, s12, s8
	s_lshl_b64 s[12:13], s[12:13], 3
	s_lshl_b64 s[20:21], s[26:27], 3
	s_load_dwordx2 s[10:11], s[10:11], 0x0
	s_add_u32 s1, s12, s20
	s_addc_u32 s3, s13, s21
	v_ashrrev_i32_e32 v3, 31, v2
	v_lshlrev_b64 v[2:3], 3, v[2:3]
	s_add_u32 s1, s24, s1
	s_addc_u32 s3, s25, s3
	v_add_co_u32_e32 v2, vcc, s1, v2
	s_ashr_i32 s1, s0, 31
	v_mul_lo_u32 v0, v6, s6
	v_mov_b32_e32 v1, s3
	s_lshl_b64 s[0:1], s[0:1], 3
	s_lshl_b64 s[12:13], s[22:23], 3
	v_addc_co_u32_e32 v3, vcc, v1, v3, vcc
	v_ashrrev_i32_e32 v1, 31, v0
	s_waitcnt lgkmcnt(0)
	s_add_u32 s3, s10, s12
	v_lshlrev_b64 v[0:1], 3, v[0:1]
	s_addc_u32 s6, s11, s13
	s_ashr_i32 s11, s7, 31
	s_mov_b32 s10, s7
	v_mov_b32_e32 v5, s6
	v_add_co_u32_e32 v4, vcc, s3, v0
	s_lshl_b64 s[6:7], s[10:11], 3
	v_addc_co_u32_e32 v5, vcc, v5, v1, vcc
	v_pk_mov_b32 v[0:1], 0, 0
	v_mov_b32_e32 v8, s1
	v_mov_b32_e32 v9, s7
.LBB24_3:                               ; =>This Inner Loop Header: Depth=1
	global_load_dwordx2 v[10:11], v[4:5], off
	global_load_dwordx2 v[12:13], v[2:3], off
	v_add_co_u32_e32 v2, vcc, s0, v2
	v_addc_co_u32_e32 v3, vcc, v3, v8, vcc
	v_add_co_u32_e32 v4, vcc, s6, v4
	s_add_i32 s2, s2, -1
	v_addc_co_u32_e32 v5, vcc, v5, v9, vcc
	s_cmp_eq_u32 s2, 0
	s_waitcnt vmcnt(0)
	v_fmac_f64_e32 v[0:1], v[10:11], v[12:13]
	s_cbranch_scc0 .LBB24_3
	s_branch .LBB24_5
.LBB24_4:
	v_pk_mov_b32 v[0:1], 0, 0
.LBB24_5:
	s_load_dwordx4 s[0:3], s[4:5], 0x80
	s_waitcnt lgkmcnt(0)
	s_mul_i32 s3, s8, s3
	s_mul_hi_u32 s6, s8, s2
	s_mul_i32 s7, s9, s2
	s_add_i32 s3, s6, s3
	s_mul_i32 s2, s8, s2
	s_add_i32 s3, s3, s7
	s_lshl_b64 s[2:3], s[2:3], 3
	s_add_u32 s6, s16, s2
	v_mul_lo_u32 v2, v6, s0
	s_addc_u32 s7, s17, s3
	s_lshl_b64 s[2:3], s[18:19], 3
	v_mad_u64_u32 v[2:3], s[0:1], v7, s1, v[2:3]
	s_add_u32 s2, s6, s2
	v_ashrrev_i32_e32 v3, 31, v2
	s_addc_u32 s3, s7, s3
	v_lshlrev_b64 v[2:3], 3, v[2:3]
	v_mov_b32_e32 v4, s3
	v_add_co_u32_e32 v2, vcc, s2, v2
	v_addc_co_u32_e32 v3, vcc, v4, v3, vcc
	global_load_dwordx2 v[4:5], v[2:3], off
	s_load_dwordx2 s[0:1], s[4:5], 0x10
	s_waitcnt vmcnt(0)
	v_mul_f64 v[4:5], v[4:5], s[14:15]
	s_waitcnt lgkmcnt(0)
	v_fmac_f64_e32 v[4:5], s[0:1], v[0:1]
	global_store_dwordx2 v[2:3], v[4:5], off
.LBB24_6:
	s_endpgm
	.section	.rodata,"a",@progbits
	.p2align	6, 0x0
	.amdhsa_kernel _ZN9rocsolver6v33100L11gemm_kernelIdidPKPdS2_S2_EEvT0_S5_S5_T1_bT2_lS5_S5_lbT3_lS5_S5_lS6_T4_lS5_S5_l
		.amdhsa_group_segment_fixed_size 0
		.amdhsa_private_segment_fixed_size 0
		.amdhsa_kernarg_size 400
		.amdhsa_user_sgpr_count 6
		.amdhsa_user_sgpr_private_segment_buffer 1
		.amdhsa_user_sgpr_dispatch_ptr 0
		.amdhsa_user_sgpr_queue_ptr 0
		.amdhsa_user_sgpr_kernarg_segment_ptr 1
		.amdhsa_user_sgpr_dispatch_id 0
		.amdhsa_user_sgpr_flat_scratch_init 0
		.amdhsa_user_sgpr_kernarg_preload_length 0
		.amdhsa_user_sgpr_kernarg_preload_offset 0
		.amdhsa_user_sgpr_private_segment_size 0
		.amdhsa_uses_dynamic_stack 0
		.amdhsa_system_sgpr_private_segment_wavefront_offset 0
		.amdhsa_system_sgpr_workgroup_id_x 1
		.amdhsa_system_sgpr_workgroup_id_y 1
		.amdhsa_system_sgpr_workgroup_id_z 1
		.amdhsa_system_sgpr_workgroup_info 0
		.amdhsa_system_vgpr_workitem_id 1
		.amdhsa_next_free_vgpr 14
		.amdhsa_next_free_sgpr 28
		.amdhsa_accum_offset 16
		.amdhsa_reserve_vcc 1
		.amdhsa_reserve_flat_scratch 0
		.amdhsa_float_round_mode_32 0
		.amdhsa_float_round_mode_16_64 0
		.amdhsa_float_denorm_mode_32 3
		.amdhsa_float_denorm_mode_16_64 3
		.amdhsa_dx10_clamp 1
		.amdhsa_ieee_mode 1
		.amdhsa_fp16_overflow 0
		.amdhsa_tg_split 0
		.amdhsa_exception_fp_ieee_invalid_op 0
		.amdhsa_exception_fp_denorm_src 0
		.amdhsa_exception_fp_ieee_div_zero 0
		.amdhsa_exception_fp_ieee_overflow 0
		.amdhsa_exception_fp_ieee_underflow 0
		.amdhsa_exception_fp_ieee_inexact 0
		.amdhsa_exception_int_div_zero 0
	.end_amdhsa_kernel
	.section	.text._ZN9rocsolver6v33100L11gemm_kernelIdidPKPdS2_S2_EEvT0_S5_S5_T1_bT2_lS5_S5_lbT3_lS5_S5_lS6_T4_lS5_S5_l,"axG",@progbits,_ZN9rocsolver6v33100L11gemm_kernelIdidPKPdS2_S2_EEvT0_S5_S5_T1_bT2_lS5_S5_lbT3_lS5_S5_lS6_T4_lS5_S5_l,comdat
.Lfunc_end24:
	.size	_ZN9rocsolver6v33100L11gemm_kernelIdidPKPdS2_S2_EEvT0_S5_S5_T1_bT2_lS5_S5_lbT3_lS5_S5_lS6_T4_lS5_S5_l, .Lfunc_end24-_ZN9rocsolver6v33100L11gemm_kernelIdidPKPdS2_S2_EEvT0_S5_S5_T1_bT2_lS5_S5_lbT3_lS5_S5_lS6_T4_lS5_S5_l
                                        ; -- End function
	.section	.AMDGPU.csdata,"",@progbits
; Kernel info:
; codeLenInByte = 540
; NumSgprs: 32
; NumVgprs: 14
; NumAgprs: 0
; TotalNumVgprs: 14
; ScratchSize: 0
; MemoryBound: 0
; FloatMode: 240
; IeeeMode: 1
; LDSByteSize: 0 bytes/workgroup (compile time only)
; SGPRBlocks: 3
; VGPRBlocks: 1
; NumSGPRsForWavesPerEU: 32
; NumVGPRsForWavesPerEU: 14
; AccumOffset: 16
; Occupancy: 8
; WaveLimiterHint : 1
; COMPUTE_PGM_RSRC2:SCRATCH_EN: 0
; COMPUTE_PGM_RSRC2:USER_SGPR: 6
; COMPUTE_PGM_RSRC2:TRAP_HANDLER: 0
; COMPUTE_PGM_RSRC2:TGID_X_EN: 1
; COMPUTE_PGM_RSRC2:TGID_Y_EN: 1
; COMPUTE_PGM_RSRC2:TGID_Z_EN: 1
; COMPUTE_PGM_RSRC2:TIDIG_COMP_CNT: 1
; COMPUTE_PGM_RSRC3_GFX90A:ACCUM_OFFSET: 3
; COMPUTE_PGM_RSRC3_GFX90A:TG_SPLIT: 0
	.section	.text._ZN9rocsolver6v33100L16mfma_gemm_kernelIdiPKdPdPKS4_S4_EEv18rocblas_operation_S7_T0_S8_S8_T1_T2_lS8_S8_lT3_lS8_S8_lS9_T4_lS8_S8_l,"axG",@progbits,_ZN9rocsolver6v33100L16mfma_gemm_kernelIdiPKdPdPKS4_S4_EEv18rocblas_operation_S7_T0_S8_S8_T1_T2_lS8_S8_lT3_lS8_S8_lS9_T4_lS8_S8_l,comdat
	.globl	_ZN9rocsolver6v33100L16mfma_gemm_kernelIdiPKdPdPKS4_S4_EEv18rocblas_operation_S7_T0_S8_S8_T1_T2_lS8_S8_lT3_lS8_S8_lS9_T4_lS8_S8_l ; -- Begin function _ZN9rocsolver6v33100L16mfma_gemm_kernelIdiPKdPdPKS4_S4_EEv18rocblas_operation_S7_T0_S8_S8_T1_T2_lS8_S8_lT3_lS8_S8_lS9_T4_lS8_S8_l
	.p2align	8
	.type	_ZN9rocsolver6v33100L16mfma_gemm_kernelIdiPKdPdPKS4_S4_EEv18rocblas_operation_S7_T0_S8_S8_T1_T2_lS8_S8_lT3_lS8_S8_lS9_T4_lS8_S8_l,@function
_ZN9rocsolver6v33100L16mfma_gemm_kernelIdiPKdPdPKS4_S4_EEv18rocblas_operation_S7_T0_S8_S8_T1_T2_lS8_S8_lT3_lS8_S8_lS9_T4_lS8_S8_l: ; @_ZN9rocsolver6v33100L16mfma_gemm_kernelIdiPKdPdPKS4_S4_EEv18rocblas_operation_S7_T0_S8_S8_T1_T2_lS8_S8_lT3_lS8_S8_lS9_T4_lS8_S8_l
; %bb.0:
	s_load_dword s0, s[4:5], 0x94
	s_load_dwordx4 s[24:27], s[4:5], 0x0
	v_and_b32_e32 v22, 0x3ff, v0
	v_bfe_u32 v0, v0, 10, 10
	v_lshrrev_b32_e32 v1, 6, v22
	s_waitcnt lgkmcnt(0)
	s_lshr_b32 s1, s0, 16
	s_bfe_u32 s0, s0, 0xa0006
	s_mul_i32 s7, s7, s1
	s_mul_i32 s6, s6, s0
	v_add_u32_e32 v0, s7, v0
	v_add_lshl_u32 v23, s6, v1, 4
	v_lshlrev_b32_e32 v24, 4, v0
	v_cmp_gt_i32_e32 vcc, s26, v23
	v_cmp_gt_i32_e64 s[0:1], s27, v24
	s_and_b64 s[0:1], vcc, s[0:1]
	s_and_saveexec_b64 s[2:3], s[0:1]
	s_cbranch_execz .LBB25_36
; %bb.1:
	s_ashr_i32 s6, s26, 31
	s_lshr_b32 s6, s6, 28
	s_add_i32 s6, s26, s6
	s_and_b32 s6, s6, -16
	s_load_dword s33, s[4:5], 0x10
	s_load_dwordx4 s[0:3], s[4:5], 0x18
	s_load_dwordx2 s[36:37], s[4:5], 0x70
	s_load_dwordx4 s[20:23], s[4:5], 0x60
	s_sub_i32 s6, s26, s6
	v_mov_b32_e32 v1, s6
	s_ashr_i32 s6, s27, 31
	s_lshr_b32 s6, s6, 28
	v_add_u32_e32 v0, 16, v23
	s_add_i32 s6, s27, s6
	v_cmp_lt_i32_e32 vcc, s26, v0
	v_add_u32_e32 v0, 16, v24
	s_and_b32 s6, s6, -16
	v_cndmask_b32_e32 v20, 16, v1, vcc
	s_sub_i32 s6, s27, s6
	v_cmp_lt_i32_e32 vcc, s27, v0
	s_waitcnt lgkmcnt(0)
	s_load_dwordx2 s[26:27], s[0:1], 0x0
	s_load_dwordx2 s[34:35], s[20:21], 0x0
	v_mov_b32_e32 v1, s6
	v_cndmask_b32_e32 v25, 16, v1, vcc
	s_ashr_i32 s9, s8, 31
	v_bfe_u32 v26, v22, 2, 4
	v_pk_mov_b32 v[6:7], 0, 0
	v_and_b32_e32 v21, 3, v22
	s_cmp_lt_i32 s33, 1
	v_cmp_lt_i32_e64 s[0:1], v26, v25
	v_mbcnt_lo_u32_b32 v27, -1, 0
	v_pk_mov_b32 v[4:5], v[6:7], v[6:7] op_sel:[0,1]
	v_pk_mov_b32 v[2:3], v[6:7], v[6:7] op_sel:[0,1]
	;; [unrolled: 1-line block ×3, first 2 shown]
	s_cbranch_scc1 .LBB25_28
; %bb.2:
	s_load_dwordx8 s[12:19], s[4:5], 0x28
	s_load_dwordx4 s[28:31], s[4:5], 0x48
	v_and_b32_e32 v2, 63, v22
	v_lshrrev_b32_e32 v32, 4, v2
	s_waitcnt lgkmcnt(0)
	s_mul_i32 s7, s8, s17
	s_mul_hi_u32 s10, s8, s16
	s_mul_i32 s11, s9, s16
	s_add_i32 s7, s10, s7
	s_mul_i32 s6, s8, s16
	s_add_i32 s7, s7, s11
	s_lshl_b64 s[6:7], s[6:7], 3
	s_add_u32 s6, s2, s6
	s_addc_u32 s7, s3, s7
	s_lshl_b64 s[2:3], s[12:13], 3
	s_add_u32 s10, s6, s2
	s_addc_u32 s11, s7, s3
	s_lshl_b64 s[2:3], s[8:9], 3
	s_add_u32 s2, s18, s2
	s_addc_u32 s3, s19, s3
	s_load_dwordx2 s[2:3], s[2:3], 0x0
	s_lshl_b64 s[6:7], s[28:29], 3
	v_mov_b32_e32 v3, s11
	s_mov_b32 s28, 0
	s_waitcnt lgkmcnt(0)
	s_add_u32 s2, s2, s6
	s_addc_u32 s3, s3, s7
	s_cmpk_lg_i32 s24, 0x6f
	s_cselect_b64 s[12:13], -1, 0
	s_cmpk_eq_i32 s24, 0x6f
	s_cselect_b32 s6, s14, s15
	v_mul_lo_u32 v0, v23, s6
	s_cmpk_lg_i32 s25, 0x6f
	v_ashrrev_i32_e32 v1, 31, v0
	s_cselect_b64 s[16:17], -1, 0
	s_cmpk_eq_i32 s25, 0x6f
	v_lshlrev_b64 v[0:1], 3, v[0:1]
	s_cselect_b32 s6, s31, s30
	v_add_co_u32_e32 v28, vcc, s10, v0
	v_mul_lo_u32 v0, v24, s6
	v_addc_co_u32_e32 v29, vcc, v3, v1, vcc
	v_ashrrev_i32_e32 v1, 31, v0
	v_lshlrev_b64 v[0:1], 3, v[0:1]
	v_mov_b32_e32 v3, s3
	v_add_co_u32_e32 v30, vcc, s2, v0
	v_addc_co_u32_e32 v31, vcc, v3, v1, vcc
	v_and_b32_e32 v1, 15, v22
	v_mul_lo_u32 v0, v1, s14
	v_lshl_or_b32 v3, v1, 2, v32
	v_mul_lo_u32 v2, v1, s30
	v_mad_u64_u32 v[8:9], s[18:19], s15, v32, v[0:1]
	v_mul_lo_u32 v0, s14, v21
	s_lshl_b32 s20, s15, 2
	v_mad_u64_u32 v[10:11], s[18:19], v26, s15, v[0:1]
	s_lshl_b32 s21, s14, 2
	v_mul_lo_u32 v0, s30, v21
	v_mad_u64_u32 v[14:15], s[14:15], s31, v32, v[2:3]
	v_mbcnt_hi_u32_b32 v2, -1, v27
	v_cmp_lt_i32_e64 s[6:7], v1, v20
	v_cmp_lt_i32_e64 s[10:11], v1, v25
	v_mad_u64_u32 v[12:13], s[14:15], v26, s31, v[0:1]
	v_pk_mov_b32 v[0:1], 0, 0
	v_and_or_b32 v2, v2, 64, v3
	v_cmp_lt_i32_e64 s[2:3], v26, v20
	s_lshl_b32 s24, s30, 2
	s_lshl_b32 s25, s31, 2
	v_lshlrev_b32_e32 v33, 2, v2
	v_pk_mov_b32 v[2:3], v[0:1], v[0:1] op_sel:[0,1]
	v_pk_mov_b32 v[4:5], v[0:1], v[0:1] op_sel:[0,1]
	;; [unrolled: 1-line block ×3, first 2 shown]
	s_branch .LBB25_6
.LBB25_3:                               ;   in Loop: Header=BB25_6 Depth=1
	s_or_b64 exec, exec, s[18:19]
.LBB25_4:                               ;   in Loop: Header=BB25_6 Depth=1
	s_or_b64 exec, exec, s[14:15]
	s_waitcnt vmcnt(0)
	ds_bpermute_b32 v18, v33, v18
	ds_bpermute_b32 v19, v33, v19
.LBB25_5:                               ;   in Loop: Header=BB25_6 Depth=1
	s_waitcnt vmcnt(0) lgkmcnt(0)
	v_mfma_f64_16x16x4f64 v[0:7], v[16:17], v[18:19], v[0:7]
	s_add_i32 s28, s28, 4
	s_cmp_ge_i32 s28, s33
	v_add_u32_e32 v8, s20, v8
	v_add_u32_e32 v10, s21, v10
	;; [unrolled: 1-line block ×4, first 2 shown]
	s_cbranch_scc1 .LBB25_28
.LBB25_6:                               ; =>This Inner Loop Header: Depth=1
	s_and_b64 vcc, exec, s[12:13]
	s_cbranch_vccz .LBB25_18
; %bb.7:                                ;   in Loop: Header=BB25_6 Depth=1
	v_pk_mov_b32 v[16:17], 0, 0
	s_and_saveexec_b64 s[14:15], s[2:3]
	s_cbranch_execz .LBB25_11
; %bb.8:                                ;   in Loop: Header=BB25_6 Depth=1
	v_add_u32_e32 v9, s28, v21
	v_cmp_gt_i32_e32 vcc, s33, v9
	v_pk_mov_b32 v[16:17], 0, 0
	s_and_saveexec_b64 s[18:19], vcc
	s_cbranch_execz .LBB25_10
; %bb.9:                                ;   in Loop: Header=BB25_6 Depth=1
	v_ashrrev_i32_e32 v11, 31, v10
	v_lshlrev_b64 v[16:17], 3, v[10:11]
	v_add_co_u32_e32 v16, vcc, v28, v16
	v_addc_co_u32_e32 v17, vcc, v29, v17, vcc
	global_load_dwordx2 v[16:17], v[16:17], off
.LBB25_10:                              ;   in Loop: Header=BB25_6 Depth=1
	s_or_b64 exec, exec, s[18:19]
.LBB25_11:                              ;   in Loop: Header=BB25_6 Depth=1
	s_or_b64 exec, exec, s[14:15]
	s_waitcnt vmcnt(0)
	ds_bpermute_b32 v16, v33, v16
	ds_bpermute_b32 v17, v33, v17
.LBB25_12:                              ;   in Loop: Header=BB25_6 Depth=1
	s_and_b64 vcc, exec, s[16:17]
	s_cbranch_vccz .LBB25_24
.LBB25_13:                              ;   in Loop: Header=BB25_6 Depth=1
	v_pk_mov_b32 v[18:19], 0, 0
	s_and_saveexec_b64 s[14:15], s[10:11]
	s_cbranch_execz .LBB25_17
; %bb.14:                               ;   in Loop: Header=BB25_6 Depth=1
	v_add_u32_e32 v9, s28, v32
	v_cmp_gt_i32_e32 vcc, s33, v9
	v_pk_mov_b32 v[18:19], 0, 0
	s_and_saveexec_b64 s[18:19], vcc
	s_cbranch_execz .LBB25_16
; %bb.15:                               ;   in Loop: Header=BB25_6 Depth=1
	v_ashrrev_i32_e32 v15, 31, v14
	v_lshlrev_b64 v[18:19], 3, v[14:15]
	v_add_co_u32_e32 v18, vcc, v30, v18
	v_addc_co_u32_e32 v19, vcc, v31, v19, vcc
	global_load_dwordx2 v[18:19], v[18:19], off
.LBB25_16:                              ;   in Loop: Header=BB25_6 Depth=1
	s_or_b64 exec, exec, s[18:19]
.LBB25_17:                              ;   in Loop: Header=BB25_6 Depth=1
	s_or_b64 exec, exec, s[14:15]
	s_cbranch_execnz .LBB25_5
	s_branch .LBB25_25
.LBB25_18:                              ;   in Loop: Header=BB25_6 Depth=1
                                        ; implicit-def: $vgpr16_vgpr17
	s_cbranch_execz .LBB25_12
; %bb.19:                               ;   in Loop: Header=BB25_6 Depth=1
	s_waitcnt lgkmcnt(0)
	v_pk_mov_b32 v[16:17], 0, 0
	s_and_saveexec_b64 s[14:15], s[6:7]
	s_cbranch_execz .LBB25_23
; %bb.20:                               ;   in Loop: Header=BB25_6 Depth=1
	v_add_u32_e32 v9, s28, v32
	v_cmp_gt_i32_e32 vcc, s33, v9
	v_pk_mov_b32 v[16:17], 0, 0
	s_and_saveexec_b64 s[18:19], vcc
	s_cbranch_execz .LBB25_22
; %bb.21:                               ;   in Loop: Header=BB25_6 Depth=1
	v_ashrrev_i32_e32 v9, 31, v8
	v_lshlrev_b64 v[16:17], 3, v[8:9]
	v_add_co_u32_e32 v16, vcc, v28, v16
	v_addc_co_u32_e32 v17, vcc, v29, v17, vcc
	global_load_dwordx2 v[16:17], v[16:17], off
.LBB25_22:                              ;   in Loop: Header=BB25_6 Depth=1
	s_or_b64 exec, exec, s[18:19]
.LBB25_23:                              ;   in Loop: Header=BB25_6 Depth=1
	s_or_b64 exec, exec, s[14:15]
	s_and_b64 vcc, exec, s[16:17]
	s_cbranch_vccnz .LBB25_13
.LBB25_24:                              ;   in Loop: Header=BB25_6 Depth=1
                                        ; implicit-def: $vgpr18_vgpr19
.LBB25_25:                              ;   in Loop: Header=BB25_6 Depth=1
	s_waitcnt vmcnt(0)
	v_pk_mov_b32 v[18:19], 0, 0
	s_and_saveexec_b64 s[14:15], s[0:1]
	s_cbranch_execz .LBB25_4
; %bb.26:                               ;   in Loop: Header=BB25_6 Depth=1
	v_add_u32_e32 v9, s28, v21
	v_cmp_gt_i32_e32 vcc, s33, v9
	v_pk_mov_b32 v[18:19], 0, 0
	s_and_saveexec_b64 s[18:19], vcc
	s_cbranch_execz .LBB25_3
; %bb.27:                               ;   in Loop: Header=BB25_6 Depth=1
	v_ashrrev_i32_e32 v13, 31, v12
	v_lshlrev_b64 v[18:19], 3, v[12:13]
	v_add_co_u32_e32 v18, vcc, v30, v18
	v_addc_co_u32_e32 v19, vcc, v31, v19, vcc
	global_load_dwordx2 v[18:19], v[18:19], off
	s_branch .LBB25_3
.LBB25_28:
	s_load_dwordx4 s[4:7], s[4:5], 0x78
	s_waitcnt lgkmcnt(0)
	s_mul_i32 s1, s8, s7
	s_mul_hi_u32 s2, s8, s6
	s_mul_i32 s3, s9, s6
	s_add_i32 s1, s2, s1
	s_mul_i32 s0, s8, s6
	s_add_i32 s1, s1, s3
	s_lshl_b64 s[0:1], s[0:1], 3
	s_add_u32 s2, s22, s0
	s_addc_u32 s3, s23, s1
	s_lshl_b64 s[0:1], s[36:37], 3
	s_add_u32 s2, s2, s0
	v_mul_lo_u32 v8, v23, s4
	s_addc_u32 s3, s3, s1
	v_mad_u64_u32 v[8:9], s[0:1], v24, s5, v[8:9]
	v_ashrrev_i32_e32 v9, 31, v8
	v_lshlrev_b64 v[8:9], 3, v[8:9]
	v_mov_b32_e32 v11, s3
	v_add_co_u32_e32 v10, vcc, s2, v8
	v_addc_co_u32_e32 v11, vcc, v11, v9, vcc
	v_lshlrev_b32_e32 v8, 4, v22
	v_mbcnt_hi_u32_b32 v9, -1, v27
	v_and_b32_e32 v8, 48, v8
	v_and_b32_e32 v9, 64, v9
	v_or3_b32 v8, v8, v9, v26
	v_lshlrev_b32_e32 v12, 2, v8
	ds_bpermute_b32 v8, v12, v0
	ds_bpermute_b32 v9, v12, v1
	v_cmp_lt_i32_e32 vcc, v26, v25
	v_cmp_lt_i32_e64 s[0:1], v21, v20
	v_mul_lo_u32 v0, v26, s5
	s_and_b64 s[0:1], vcc, s[0:1]
	s_and_saveexec_b64 s[2:3], s[0:1]
	s_cbranch_execz .LBB25_30
; %bb.29:
	v_mad_u64_u32 v[14:15], s[0:1], v21, s4, v[0:1]
	v_ashrrev_i32_e32 v15, 31, v14
	v_lshlrev_b64 v[14:15], 3, v[14:15]
	v_add_co_u32_e64 v14, s[0:1], v10, v14
	v_addc_co_u32_e64 v15, s[0:1], v11, v15, s[0:1]
	global_load_dwordx2 v[16:17], v[14:15], off
	s_waitcnt vmcnt(0)
	v_mul_f64 v[16:17], s[34:35], v[16:17]
	s_waitcnt lgkmcnt(0)
	v_fmac_f64_e32 v[16:17], s[26:27], v[8:9]
	global_store_dwordx2 v[14:15], v[16:17], off
.LBB25_30:
	s_or_b64 exec, exec, s[2:3]
	ds_bpermute_b32 v2, v12, v2
	ds_bpermute_b32 v3, v12, v3
	v_or_b32_e32 v1, 4, v21
	v_cmp_lt_i32_e64 s[0:1], v1, v20
	s_and_b64 s[0:1], vcc, s[0:1]
	s_and_saveexec_b64 s[2:3], s[0:1]
	s_cbranch_execz .LBB25_32
; %bb.31:
	s_waitcnt lgkmcnt(2)
	v_mad_u64_u32 v[8:9], s[0:1], v1, s4, v[0:1]
	v_ashrrev_i32_e32 v9, 31, v8
	v_lshlrev_b64 v[8:9], 3, v[8:9]
	v_add_co_u32_e64 v8, s[0:1], v10, v8
	v_addc_co_u32_e64 v9, s[0:1], v11, v9, s[0:1]
	global_load_dwordx2 v[14:15], v[8:9], off
	s_waitcnt vmcnt(0)
	v_mul_f64 v[14:15], s[34:35], v[14:15]
	s_waitcnt lgkmcnt(0)
	v_fmac_f64_e32 v[14:15], s[26:27], v[2:3]
	global_store_dwordx2 v[8:9], v[14:15], off
.LBB25_32:
	s_or_b64 exec, exec, s[2:3]
	s_waitcnt lgkmcnt(1)
	ds_bpermute_b32 v2, v12, v4
	s_waitcnt lgkmcnt(1)
	ds_bpermute_b32 v3, v12, v5
	v_or_b32_e32 v1, 8, v21
	v_cmp_lt_i32_e64 s[0:1], v1, v20
	s_and_b64 s[0:1], vcc, s[0:1]
	s_and_saveexec_b64 s[2:3], s[0:1]
	s_cbranch_execz .LBB25_34
; %bb.33:
	v_mad_u64_u32 v[4:5], s[0:1], v1, s4, v[0:1]
	v_ashrrev_i32_e32 v5, 31, v4
	v_lshlrev_b64 v[4:5], 3, v[4:5]
	v_add_co_u32_e64 v4, s[0:1], v10, v4
	v_addc_co_u32_e64 v5, s[0:1], v11, v5, s[0:1]
	global_load_dwordx2 v[8:9], v[4:5], off
	s_waitcnt vmcnt(0)
	v_mul_f64 v[8:9], s[34:35], v[8:9]
	s_waitcnt lgkmcnt(0)
	v_fmac_f64_e32 v[8:9], s[26:27], v[2:3]
	global_store_dwordx2 v[4:5], v[8:9], off
.LBB25_34:
	s_or_b64 exec, exec, s[2:3]
	s_waitcnt lgkmcnt(1)
	ds_bpermute_b32 v2, v12, v6
	s_waitcnt lgkmcnt(1)
	ds_bpermute_b32 v3, v12, v7
	v_or_b32_e32 v1, 12, v21
	v_cmp_lt_i32_e64 s[0:1], v1, v20
	s_and_b64 s[0:1], vcc, s[0:1]
	s_and_b64 exec, exec, s[0:1]
	s_cbranch_execz .LBB25_36
; %bb.35:
	v_mad_u64_u32 v[0:1], s[0:1], v1, s4, v[0:1]
	v_ashrrev_i32_e32 v1, 31, v0
	v_lshlrev_b64 v[0:1], 3, v[0:1]
	v_add_co_u32_e32 v0, vcc, v10, v0
	v_addc_co_u32_e32 v1, vcc, v11, v1, vcc
	global_load_dwordx2 v[4:5], v[0:1], off
	s_waitcnt vmcnt(0)
	v_mul_f64 v[4:5], s[34:35], v[4:5]
	s_waitcnt lgkmcnt(0)
	v_fmac_f64_e32 v[4:5], s[26:27], v[2:3]
	global_store_dwordx2 v[0:1], v[4:5], off
.LBB25_36:
	s_endpgm
	.section	.rodata,"a",@progbits
	.p2align	6, 0x0
	.amdhsa_kernel _ZN9rocsolver6v33100L16mfma_gemm_kernelIdiPKdPdPKS4_S4_EEv18rocblas_operation_S7_T0_S8_S8_T1_T2_lS8_S8_lT3_lS8_S8_lS9_T4_lS8_S8_l
		.amdhsa_group_segment_fixed_size 0
		.amdhsa_private_segment_fixed_size 0
		.amdhsa_kernarg_size 392
		.amdhsa_user_sgpr_count 6
		.amdhsa_user_sgpr_private_segment_buffer 1
		.amdhsa_user_sgpr_dispatch_ptr 0
		.amdhsa_user_sgpr_queue_ptr 0
		.amdhsa_user_sgpr_kernarg_segment_ptr 1
		.amdhsa_user_sgpr_dispatch_id 0
		.amdhsa_user_sgpr_flat_scratch_init 0
		.amdhsa_user_sgpr_kernarg_preload_length 0
		.amdhsa_user_sgpr_kernarg_preload_offset 0
		.amdhsa_user_sgpr_private_segment_size 0
		.amdhsa_uses_dynamic_stack 0
		.amdhsa_system_sgpr_private_segment_wavefront_offset 0
		.amdhsa_system_sgpr_workgroup_id_x 1
		.amdhsa_system_sgpr_workgroup_id_y 1
		.amdhsa_system_sgpr_workgroup_id_z 1
		.amdhsa_system_sgpr_workgroup_info 0
		.amdhsa_system_vgpr_workitem_id 1
		.amdhsa_next_free_vgpr 34
		.amdhsa_next_free_sgpr 38
		.amdhsa_accum_offset 36
		.amdhsa_reserve_vcc 1
		.amdhsa_reserve_flat_scratch 0
		.amdhsa_float_round_mode_32 0
		.amdhsa_float_round_mode_16_64 0
		.amdhsa_float_denorm_mode_32 3
		.amdhsa_float_denorm_mode_16_64 3
		.amdhsa_dx10_clamp 1
		.amdhsa_ieee_mode 1
		.amdhsa_fp16_overflow 0
		.amdhsa_tg_split 0
		.amdhsa_exception_fp_ieee_invalid_op 0
		.amdhsa_exception_fp_denorm_src 0
		.amdhsa_exception_fp_ieee_div_zero 0
		.amdhsa_exception_fp_ieee_overflow 0
		.amdhsa_exception_fp_ieee_underflow 0
		.amdhsa_exception_fp_ieee_inexact 0
		.amdhsa_exception_int_div_zero 0
	.end_amdhsa_kernel
	.section	.text._ZN9rocsolver6v33100L16mfma_gemm_kernelIdiPKdPdPKS4_S4_EEv18rocblas_operation_S7_T0_S8_S8_T1_T2_lS8_S8_lT3_lS8_S8_lS9_T4_lS8_S8_l,"axG",@progbits,_ZN9rocsolver6v33100L16mfma_gemm_kernelIdiPKdPdPKS4_S4_EEv18rocblas_operation_S7_T0_S8_S8_T1_T2_lS8_S8_lT3_lS8_S8_lS9_T4_lS8_S8_l,comdat
.Lfunc_end25:
	.size	_ZN9rocsolver6v33100L16mfma_gemm_kernelIdiPKdPdPKS4_S4_EEv18rocblas_operation_S7_T0_S8_S8_T1_T2_lS8_S8_lT3_lS8_S8_lS9_T4_lS8_S8_l, .Lfunc_end25-_ZN9rocsolver6v33100L16mfma_gemm_kernelIdiPKdPdPKS4_S4_EEv18rocblas_operation_S7_T0_S8_S8_T1_T2_lS8_S8_lT3_lS8_S8_lS9_T4_lS8_S8_l
                                        ; -- End function
	.section	.AMDGPU.csdata,"",@progbits
; Kernel info:
; codeLenInByte = 1728
; NumSgprs: 42
; NumVgprs: 34
; NumAgprs: 0
; TotalNumVgprs: 34
; ScratchSize: 0
; MemoryBound: 0
; FloatMode: 240
; IeeeMode: 1
; LDSByteSize: 0 bytes/workgroup (compile time only)
; SGPRBlocks: 5
; VGPRBlocks: 4
; NumSGPRsForWavesPerEU: 42
; NumVGPRsForWavesPerEU: 34
; AccumOffset: 36
; Occupancy: 8
; WaveLimiterHint : 1
; COMPUTE_PGM_RSRC2:SCRATCH_EN: 0
; COMPUTE_PGM_RSRC2:USER_SGPR: 6
; COMPUTE_PGM_RSRC2:TRAP_HANDLER: 0
; COMPUTE_PGM_RSRC2:TGID_X_EN: 1
; COMPUTE_PGM_RSRC2:TGID_Y_EN: 1
; COMPUTE_PGM_RSRC2:TGID_Z_EN: 1
; COMPUTE_PGM_RSRC2:TIDIG_COMP_CNT: 1
; COMPUTE_PGM_RSRC3_GFX90A:ACCUM_OFFSET: 8
; COMPUTE_PGM_RSRC3_GFX90A:TG_SPLIT: 0
	.section	.text._ZN9rocsolver6v33100L16mfma_gemm_kernelIdidPdPKS2_S2_EEv18rocblas_operation_S5_T0_S6_S6_T1_T2_lS6_S6_lT3_lS6_S6_lS7_T4_lS6_S6_l,"axG",@progbits,_ZN9rocsolver6v33100L16mfma_gemm_kernelIdidPdPKS2_S2_EEv18rocblas_operation_S5_T0_S6_S6_T1_T2_lS6_S6_lT3_lS6_S6_lS7_T4_lS6_S6_l,comdat
	.globl	_ZN9rocsolver6v33100L16mfma_gemm_kernelIdidPdPKS2_S2_EEv18rocblas_operation_S5_T0_S6_S6_T1_T2_lS6_S6_lT3_lS6_S6_lS7_T4_lS6_S6_l ; -- Begin function _ZN9rocsolver6v33100L16mfma_gemm_kernelIdidPdPKS2_S2_EEv18rocblas_operation_S5_T0_S6_S6_T1_T2_lS6_S6_lT3_lS6_S6_lS7_T4_lS6_S6_l
	.p2align	8
	.type	_ZN9rocsolver6v33100L16mfma_gemm_kernelIdidPdPKS2_S2_EEv18rocblas_operation_S5_T0_S6_S6_T1_T2_lS6_S6_lT3_lS6_S6_lS7_T4_lS6_S6_l,@function
_ZN9rocsolver6v33100L16mfma_gemm_kernelIdidPdPKS2_S2_EEv18rocblas_operation_S5_T0_S6_S6_T1_T2_lS6_S6_lT3_lS6_S6_lS7_T4_lS6_S6_l: ; @_ZN9rocsolver6v33100L16mfma_gemm_kernelIdidPdPKS2_S2_EEv18rocblas_operation_S5_T0_S6_S6_T1_T2_lS6_S6_lT3_lS6_S6_lS7_T4_lS6_S6_l
; %bb.0:
	s_load_dword s0, s[4:5], 0x94
	s_load_dwordx4 s[24:27], s[4:5], 0x0
	v_and_b32_e32 v22, 0x3ff, v0
	v_bfe_u32 v0, v0, 10, 10
	v_lshrrev_b32_e32 v1, 6, v22
	s_waitcnt lgkmcnt(0)
	s_lshr_b32 s1, s0, 16
	s_bfe_u32 s0, s0, 0xa0006
	s_mul_i32 s7, s7, s1
	s_mul_i32 s6, s6, s0
	v_add_u32_e32 v0, s7, v0
	v_add_lshl_u32 v23, s6, v1, 4
	v_lshlrev_b32_e32 v24, 4, v0
	v_cmp_gt_i32_e32 vcc, s26, v23
	v_cmp_gt_i32_e64 s[0:1], s27, v24
	s_and_b64 s[0:1], vcc, s[0:1]
	s_and_saveexec_b64 s[2:3], s[0:1]
	s_cbranch_execz .LBB26_36
; %bb.1:
	s_ashr_i32 s0, s26, 31
	s_lshr_b32 s0, s0, 28
	s_add_i32 s0, s26, s0
	s_and_b32 s0, s0, -16
	s_sub_i32 s0, s26, s0
	v_mov_b32_e32 v1, s0
	s_ashr_i32 s0, s27, 31
	s_lshr_b32 s0, s0, 28
	s_add_i32 s0, s27, s0
	v_add_u32_e32 v0, 16, v23
	s_and_b32 s0, s0, -16
	s_load_dword s28, s[4:5], 0x10
	s_load_dwordx4 s[20:23], s[4:5], 0x18
	s_load_dwordx2 s[2:3], s[4:5], 0x28
	v_cmp_lt_i32_e32 vcc, s26, v0
	v_add_u32_e32 v0, 16, v24
	s_sub_i32 s0, s27, s0
	v_cndmask_b32_e32 v20, 16, v1, vcc
	v_mov_b32_e32 v1, s0
	v_cmp_lt_i32_e32 vcc, s27, v0
	v_cndmask_b32_e32 v25, 16, v1, vcc
	s_ashr_i32 s9, s8, 31
	v_bfe_u32 v26, v22, 2, 4
	v_pk_mov_b32 v[6:7], 0, 0
	v_and_b32_e32 v21, 3, v22
	s_waitcnt lgkmcnt(0)
	s_cmp_lt_i32 s28, 1
	v_cmp_lt_i32_e64 s[0:1], v26, v25
	v_mbcnt_lo_u32_b32 v27, -1, 0
	v_pk_mov_b32 v[4:5], v[6:7], v[6:7] op_sel:[0,1]
	v_pk_mov_b32 v[2:3], v[6:7], v[6:7] op_sel:[0,1]
	;; [unrolled: 1-line block ×3, first 2 shown]
	s_cbranch_scc1 .LBB26_28
; %bb.2:
	s_load_dwordx8 s[12:19], s[4:5], 0x38
	s_load_dwordx2 s[26:27], s[4:5], 0x30
	v_and_b32_e32 v2, 63, v22
	v_lshrrev_b32_e32 v32, 4, v2
	s_waitcnt lgkmcnt(0)
	s_mul_i32 s7, s8, s13
	s_mul_hi_u32 s10, s8, s12
	s_mul_i32 s11, s9, s12
	s_add_i32 s7, s10, s7
	s_mul_i32 s6, s8, s12
	s_add_i32 s7, s7, s11
	s_lshl_b64 s[6:7], s[6:7], 3
	s_add_u32 s6, s22, s6
	s_addc_u32 s7, s23, s7
	s_lshl_b64 s[2:3], s[2:3], 3
	s_add_u32 s10, s6, s2
	s_addc_u32 s11, s7, s3
	;; [unrolled: 3-line block ×3, first 2 shown]
	s_load_dwordx2 s[2:3], s[2:3], 0x0
	s_lshl_b64 s[6:7], s[16:17], 3
	v_mov_b32_e32 v3, s11
	s_waitcnt lgkmcnt(0)
	s_add_u32 s2, s2, s6
	s_addc_u32 s3, s3, s7
	s_cmpk_lg_i32 s24, 0x6f
	s_cselect_b64 s[12:13], -1, 0
	s_cmpk_eq_i32 s24, 0x6f
	s_cselect_b32 s6, s26, s27
	v_mul_lo_u32 v0, v23, s6
	s_cmpk_lg_i32 s25, 0x6f
	v_ashrrev_i32_e32 v1, 31, v0
	s_cselect_b64 s[14:15], -1, 0
	s_cmpk_eq_i32 s25, 0x6f
	v_lshlrev_b64 v[0:1], 3, v[0:1]
	s_cselect_b32 s6, s19, s18
	v_add_co_u32_e32 v28, vcc, s10, v0
	v_mul_lo_u32 v0, v24, s6
	v_addc_co_u32_e32 v29, vcc, v3, v1, vcc
	v_ashrrev_i32_e32 v1, 31, v0
	v_lshlrev_b64 v[0:1], 3, v[0:1]
	v_mov_b32_e32 v3, s3
	v_add_co_u32_e32 v30, vcc, s2, v0
	v_addc_co_u32_e32 v31, vcc, v3, v1, vcc
	v_and_b32_e32 v1, 15, v22
	v_mul_lo_u32 v0, v1, s26
	v_lshl_or_b32 v3, v1, 2, v32
	v_mul_lo_u32 v2, v1, s18
	v_mad_u64_u32 v[8:9], s[16:17], s27, v32, v[0:1]
	v_mul_lo_u32 v0, s26, v21
	v_mad_u64_u32 v[10:11], s[16:17], v26, s27, v[0:1]
	v_mul_lo_u32 v0, s18, v21
	v_mad_u64_u32 v[14:15], s[16:17], s19, v32, v[2:3]
	v_mbcnt_hi_u32_b32 v2, -1, v27
	v_cmp_lt_i32_e64 s[6:7], v1, v20
	v_cmp_lt_i32_e64 s[10:11], v1, v25
	v_mad_u64_u32 v[12:13], s[16:17], v26, s19, v[0:1]
	v_pk_mov_b32 v[0:1], 0, 0
	v_and_or_b32 v2, v2, 64, v3
	v_cmp_lt_i32_e64 s[2:3], v26, v20
	s_lshl_b32 s22, s27, 2
	s_lshl_b32 s23, s26, 2
	;; [unrolled: 1-line block ×4, first 2 shown]
	s_mov_b32 s26, 0
	v_lshlrev_b32_e32 v33, 2, v2
	v_pk_mov_b32 v[2:3], v[0:1], v[0:1] op_sel:[0,1]
	v_pk_mov_b32 v[4:5], v[0:1], v[0:1] op_sel:[0,1]
	;; [unrolled: 1-line block ×3, first 2 shown]
	s_branch .LBB26_6
.LBB26_3:                               ;   in Loop: Header=BB26_6 Depth=1
	s_or_b64 exec, exec, s[18:19]
.LBB26_4:                               ;   in Loop: Header=BB26_6 Depth=1
	s_or_b64 exec, exec, s[16:17]
	s_waitcnt vmcnt(0)
	ds_bpermute_b32 v18, v33, v18
	ds_bpermute_b32 v19, v33, v19
.LBB26_5:                               ;   in Loop: Header=BB26_6 Depth=1
	s_waitcnt vmcnt(0) lgkmcnt(0)
	v_mfma_f64_16x16x4f64 v[0:7], v[16:17], v[18:19], v[0:7]
	s_add_i32 s26, s26, 4
	s_cmp_ge_i32 s26, s28
	v_add_u32_e32 v8, s22, v8
	v_add_u32_e32 v10, s23, v10
	;; [unrolled: 1-line block ×4, first 2 shown]
	s_cbranch_scc1 .LBB26_28
.LBB26_6:                               ; =>This Inner Loop Header: Depth=1
	s_and_b64 vcc, exec, s[12:13]
	s_cbranch_vccz .LBB26_18
; %bb.7:                                ;   in Loop: Header=BB26_6 Depth=1
	v_pk_mov_b32 v[16:17], 0, 0
	s_and_saveexec_b64 s[16:17], s[2:3]
	s_cbranch_execz .LBB26_11
; %bb.8:                                ;   in Loop: Header=BB26_6 Depth=1
	v_add_u32_e32 v9, s26, v21
	v_cmp_gt_i32_e32 vcc, s28, v9
	v_pk_mov_b32 v[16:17], 0, 0
	s_and_saveexec_b64 s[18:19], vcc
	s_cbranch_execz .LBB26_10
; %bb.9:                                ;   in Loop: Header=BB26_6 Depth=1
	v_ashrrev_i32_e32 v11, 31, v10
	v_lshlrev_b64 v[16:17], 3, v[10:11]
	v_add_co_u32_e32 v16, vcc, v28, v16
	v_addc_co_u32_e32 v17, vcc, v29, v17, vcc
	global_load_dwordx2 v[16:17], v[16:17], off
.LBB26_10:                              ;   in Loop: Header=BB26_6 Depth=1
	s_or_b64 exec, exec, s[18:19]
.LBB26_11:                              ;   in Loop: Header=BB26_6 Depth=1
	s_or_b64 exec, exec, s[16:17]
	s_waitcnt vmcnt(0)
	ds_bpermute_b32 v16, v33, v16
	ds_bpermute_b32 v17, v33, v17
.LBB26_12:                              ;   in Loop: Header=BB26_6 Depth=1
	s_and_b64 vcc, exec, s[14:15]
	s_cbranch_vccz .LBB26_24
.LBB26_13:                              ;   in Loop: Header=BB26_6 Depth=1
	v_pk_mov_b32 v[18:19], 0, 0
	s_and_saveexec_b64 s[16:17], s[10:11]
	s_cbranch_execz .LBB26_17
; %bb.14:                               ;   in Loop: Header=BB26_6 Depth=1
	v_add_u32_e32 v9, s26, v32
	v_cmp_gt_i32_e32 vcc, s28, v9
	v_pk_mov_b32 v[18:19], 0, 0
	s_and_saveexec_b64 s[18:19], vcc
	s_cbranch_execz .LBB26_16
; %bb.15:                               ;   in Loop: Header=BB26_6 Depth=1
	v_ashrrev_i32_e32 v15, 31, v14
	v_lshlrev_b64 v[18:19], 3, v[14:15]
	v_add_co_u32_e32 v18, vcc, v30, v18
	v_addc_co_u32_e32 v19, vcc, v31, v19, vcc
	global_load_dwordx2 v[18:19], v[18:19], off
.LBB26_16:                              ;   in Loop: Header=BB26_6 Depth=1
	s_or_b64 exec, exec, s[18:19]
.LBB26_17:                              ;   in Loop: Header=BB26_6 Depth=1
	s_or_b64 exec, exec, s[16:17]
	s_cbranch_execnz .LBB26_5
	s_branch .LBB26_25
.LBB26_18:                              ;   in Loop: Header=BB26_6 Depth=1
                                        ; implicit-def: $vgpr16_vgpr17
	s_cbranch_execz .LBB26_12
; %bb.19:                               ;   in Loop: Header=BB26_6 Depth=1
	s_waitcnt lgkmcnt(0)
	v_pk_mov_b32 v[16:17], 0, 0
	s_and_saveexec_b64 s[16:17], s[6:7]
	s_cbranch_execz .LBB26_23
; %bb.20:                               ;   in Loop: Header=BB26_6 Depth=1
	v_add_u32_e32 v9, s26, v32
	v_cmp_gt_i32_e32 vcc, s28, v9
	v_pk_mov_b32 v[16:17], 0, 0
	s_and_saveexec_b64 s[18:19], vcc
	s_cbranch_execz .LBB26_22
; %bb.21:                               ;   in Loop: Header=BB26_6 Depth=1
	v_ashrrev_i32_e32 v9, 31, v8
	v_lshlrev_b64 v[16:17], 3, v[8:9]
	v_add_co_u32_e32 v16, vcc, v28, v16
	v_addc_co_u32_e32 v17, vcc, v29, v17, vcc
	global_load_dwordx2 v[16:17], v[16:17], off
.LBB26_22:                              ;   in Loop: Header=BB26_6 Depth=1
	s_or_b64 exec, exec, s[18:19]
.LBB26_23:                              ;   in Loop: Header=BB26_6 Depth=1
	s_or_b64 exec, exec, s[16:17]
	s_and_b64 vcc, exec, s[14:15]
	s_cbranch_vccnz .LBB26_13
.LBB26_24:                              ;   in Loop: Header=BB26_6 Depth=1
                                        ; implicit-def: $vgpr18_vgpr19
.LBB26_25:                              ;   in Loop: Header=BB26_6 Depth=1
	s_waitcnt vmcnt(0)
	v_pk_mov_b32 v[18:19], 0, 0
	s_and_saveexec_b64 s[16:17], s[0:1]
	s_cbranch_execz .LBB26_4
; %bb.26:                               ;   in Loop: Header=BB26_6 Depth=1
	v_add_u32_e32 v9, s26, v21
	v_cmp_gt_i32_e32 vcc, s28, v9
	v_pk_mov_b32 v[18:19], 0, 0
	s_and_saveexec_b64 s[18:19], vcc
	s_cbranch_execz .LBB26_3
; %bb.27:                               ;   in Loop: Header=BB26_6 Depth=1
	v_ashrrev_i32_e32 v13, 31, v12
	v_lshlrev_b64 v[18:19], 3, v[12:13]
	v_add_co_u32_e32 v18, vcc, v30, v18
	v_addc_co_u32_e32 v19, vcc, v31, v19, vcc
	global_load_dwordx2 v[18:19], v[18:19], off
	s_branch .LBB26_3
.LBB26_28:
	s_load_dwordx2 s[0:1], s[4:5], 0x80
	s_load_dwordx8 s[12:19], s[4:5], 0x60
	s_waitcnt lgkmcnt(0)
	s_mul_i32 s1, s8, s1
	s_mul_hi_u32 s2, s8, s0
	s_mul_i32 s3, s9, s0
	s_add_i32 s1, s2, s1
	s_mul_i32 s0, s8, s0
	s_add_i32 s1, s1, s3
	s_lshl_b64 s[0:1], s[0:1], 3
	s_add_u32 s2, s14, s0
	s_addc_u32 s3, s15, s1
	s_lshl_b64 s[0:1], s[16:17], 3
	s_add_u32 s2, s2, s0
	v_mul_lo_u32 v8, v23, s18
	s_addc_u32 s3, s3, s1
	v_mad_u64_u32 v[8:9], s[0:1], v24, s19, v[8:9]
	v_ashrrev_i32_e32 v9, 31, v8
	v_lshlrev_b64 v[8:9], 3, v[8:9]
	v_mov_b32_e32 v11, s3
	v_add_co_u32_e32 v10, vcc, s2, v8
	v_addc_co_u32_e32 v11, vcc, v11, v9, vcc
	v_lshlrev_b32_e32 v8, 4, v22
	v_mbcnt_hi_u32_b32 v9, -1, v27
	v_and_b32_e32 v8, 48, v8
	v_and_b32_e32 v9, 64, v9
	v_or3_b32 v8, v8, v9, v26
	v_lshlrev_b32_e32 v12, 2, v8
	ds_bpermute_b32 v8, v12, v0
	ds_bpermute_b32 v9, v12, v1
	v_cmp_lt_i32_e32 vcc, v26, v25
	v_cmp_lt_i32_e64 s[0:1], v21, v20
	v_mul_lo_u32 v0, v26, s19
	s_and_b64 s[0:1], vcc, s[0:1]
	s_and_saveexec_b64 s[2:3], s[0:1]
	s_cbranch_execz .LBB26_30
; %bb.29:
	v_mad_u64_u32 v[14:15], s[0:1], v21, s18, v[0:1]
	v_ashrrev_i32_e32 v15, 31, v14
	v_lshlrev_b64 v[14:15], 3, v[14:15]
	v_add_co_u32_e64 v14, s[0:1], v10, v14
	v_addc_co_u32_e64 v15, s[0:1], v11, v15, s[0:1]
	global_load_dwordx2 v[16:17], v[14:15], off
	s_waitcnt vmcnt(0)
	v_mul_f64 v[16:17], v[16:17], s[12:13]
	s_waitcnt lgkmcnt(0)
	v_fmac_f64_e32 v[16:17], s[20:21], v[8:9]
	global_store_dwordx2 v[14:15], v[16:17], off
.LBB26_30:
	s_or_b64 exec, exec, s[2:3]
	ds_bpermute_b32 v2, v12, v2
	ds_bpermute_b32 v3, v12, v3
	v_or_b32_e32 v1, 4, v21
	v_cmp_lt_i32_e64 s[0:1], v1, v20
	s_and_b64 s[0:1], vcc, s[0:1]
	s_and_saveexec_b64 s[2:3], s[0:1]
	s_cbranch_execz .LBB26_32
; %bb.31:
	s_waitcnt lgkmcnt(2)
	v_mad_u64_u32 v[8:9], s[0:1], v1, s18, v[0:1]
	v_ashrrev_i32_e32 v9, 31, v8
	v_lshlrev_b64 v[8:9], 3, v[8:9]
	v_add_co_u32_e64 v8, s[0:1], v10, v8
	v_addc_co_u32_e64 v9, s[0:1], v11, v9, s[0:1]
	global_load_dwordx2 v[14:15], v[8:9], off
	s_waitcnt vmcnt(0)
	v_mul_f64 v[14:15], v[14:15], s[12:13]
	s_waitcnt lgkmcnt(0)
	v_fmac_f64_e32 v[14:15], s[20:21], v[2:3]
	global_store_dwordx2 v[8:9], v[14:15], off
.LBB26_32:
	s_or_b64 exec, exec, s[2:3]
	s_waitcnt lgkmcnt(1)
	ds_bpermute_b32 v2, v12, v4
	s_waitcnt lgkmcnt(1)
	ds_bpermute_b32 v3, v12, v5
	v_or_b32_e32 v1, 8, v21
	v_cmp_lt_i32_e64 s[0:1], v1, v20
	s_and_b64 s[0:1], vcc, s[0:1]
	s_and_saveexec_b64 s[2:3], s[0:1]
	s_cbranch_execz .LBB26_34
; %bb.33:
	v_mad_u64_u32 v[4:5], s[0:1], v1, s18, v[0:1]
	v_ashrrev_i32_e32 v5, 31, v4
	v_lshlrev_b64 v[4:5], 3, v[4:5]
	v_add_co_u32_e64 v4, s[0:1], v10, v4
	v_addc_co_u32_e64 v5, s[0:1], v11, v5, s[0:1]
	global_load_dwordx2 v[8:9], v[4:5], off
	s_waitcnt vmcnt(0)
	v_mul_f64 v[8:9], v[8:9], s[12:13]
	s_waitcnt lgkmcnt(0)
	v_fmac_f64_e32 v[8:9], s[20:21], v[2:3]
	global_store_dwordx2 v[4:5], v[8:9], off
.LBB26_34:
	s_or_b64 exec, exec, s[2:3]
	s_waitcnt lgkmcnt(1)
	ds_bpermute_b32 v2, v12, v6
	s_waitcnt lgkmcnt(1)
	ds_bpermute_b32 v3, v12, v7
	v_or_b32_e32 v1, 12, v21
	v_cmp_lt_i32_e64 s[0:1], v1, v20
	s_and_b64 s[0:1], vcc, s[0:1]
	s_and_b64 exec, exec, s[0:1]
	s_cbranch_execz .LBB26_36
; %bb.35:
	v_mad_u64_u32 v[0:1], s[0:1], v1, s18, v[0:1]
	v_ashrrev_i32_e32 v1, 31, v0
	v_lshlrev_b64 v[0:1], 3, v[0:1]
	v_add_co_u32_e32 v0, vcc, v10, v0
	v_addc_co_u32_e32 v1, vcc, v11, v1, vcc
	global_load_dwordx2 v[4:5], v[0:1], off
	s_waitcnt vmcnt(0)
	v_mul_f64 v[4:5], v[4:5], s[12:13]
	s_waitcnt lgkmcnt(0)
	v_fmac_f64_e32 v[4:5], s[20:21], v[2:3]
	global_store_dwordx2 v[0:1], v[4:5], off
.LBB26_36:
	s_endpgm
	.section	.rodata,"a",@progbits
	.p2align	6, 0x0
	.amdhsa_kernel _ZN9rocsolver6v33100L16mfma_gemm_kernelIdidPdPKS2_S2_EEv18rocblas_operation_S5_T0_S6_S6_T1_T2_lS6_S6_lT3_lS6_S6_lS7_T4_lS6_S6_l
		.amdhsa_group_segment_fixed_size 0
		.amdhsa_private_segment_fixed_size 0
		.amdhsa_kernarg_size 392
		.amdhsa_user_sgpr_count 6
		.amdhsa_user_sgpr_private_segment_buffer 1
		.amdhsa_user_sgpr_dispatch_ptr 0
		.amdhsa_user_sgpr_queue_ptr 0
		.amdhsa_user_sgpr_kernarg_segment_ptr 1
		.amdhsa_user_sgpr_dispatch_id 0
		.amdhsa_user_sgpr_flat_scratch_init 0
		.amdhsa_user_sgpr_kernarg_preload_length 0
		.amdhsa_user_sgpr_kernarg_preload_offset 0
		.amdhsa_user_sgpr_private_segment_size 0
		.amdhsa_uses_dynamic_stack 0
		.amdhsa_system_sgpr_private_segment_wavefront_offset 0
		.amdhsa_system_sgpr_workgroup_id_x 1
		.amdhsa_system_sgpr_workgroup_id_y 1
		.amdhsa_system_sgpr_workgroup_id_z 1
		.amdhsa_system_sgpr_workgroup_info 0
		.amdhsa_system_vgpr_workitem_id 1
		.amdhsa_next_free_vgpr 34
		.amdhsa_next_free_sgpr 29
		.amdhsa_accum_offset 36
		.amdhsa_reserve_vcc 1
		.amdhsa_reserve_flat_scratch 0
		.amdhsa_float_round_mode_32 0
		.amdhsa_float_round_mode_16_64 0
		.amdhsa_float_denorm_mode_32 3
		.amdhsa_float_denorm_mode_16_64 3
		.amdhsa_dx10_clamp 1
		.amdhsa_ieee_mode 1
		.amdhsa_fp16_overflow 0
		.amdhsa_tg_split 0
		.amdhsa_exception_fp_ieee_invalid_op 0
		.amdhsa_exception_fp_denorm_src 0
		.amdhsa_exception_fp_ieee_div_zero 0
		.amdhsa_exception_fp_ieee_overflow 0
		.amdhsa_exception_fp_ieee_underflow 0
		.amdhsa_exception_fp_ieee_inexact 0
		.amdhsa_exception_int_div_zero 0
	.end_amdhsa_kernel
	.section	.text._ZN9rocsolver6v33100L16mfma_gemm_kernelIdidPdPKS2_S2_EEv18rocblas_operation_S5_T0_S6_S6_T1_T2_lS6_S6_lT3_lS6_S6_lS7_T4_lS6_S6_l,"axG",@progbits,_ZN9rocsolver6v33100L16mfma_gemm_kernelIdidPdPKS2_S2_EEv18rocblas_operation_S5_T0_S6_S6_T1_T2_lS6_S6_lT3_lS6_S6_lS7_T4_lS6_S6_l,comdat
.Lfunc_end26:
	.size	_ZN9rocsolver6v33100L16mfma_gemm_kernelIdidPdPKS2_S2_EEv18rocblas_operation_S5_T0_S6_S6_T1_T2_lS6_S6_lT3_lS6_S6_lS7_T4_lS6_S6_l, .Lfunc_end26-_ZN9rocsolver6v33100L16mfma_gemm_kernelIdidPdPKS2_S2_EEv18rocblas_operation_S5_T0_S6_S6_T1_T2_lS6_S6_lT3_lS6_S6_lS7_T4_lS6_S6_l
                                        ; -- End function
	.section	.AMDGPU.csdata,"",@progbits
; Kernel info:
; codeLenInByte = 1712
; NumSgprs: 33
; NumVgprs: 34
; NumAgprs: 0
; TotalNumVgprs: 34
; ScratchSize: 0
; MemoryBound: 0
; FloatMode: 240
; IeeeMode: 1
; LDSByteSize: 0 bytes/workgroup (compile time only)
; SGPRBlocks: 4
; VGPRBlocks: 4
; NumSGPRsForWavesPerEU: 33
; NumVGPRsForWavesPerEU: 34
; AccumOffset: 36
; Occupancy: 8
; WaveLimiterHint : 1
; COMPUTE_PGM_RSRC2:SCRATCH_EN: 0
; COMPUTE_PGM_RSRC2:USER_SGPR: 6
; COMPUTE_PGM_RSRC2:TRAP_HANDLER: 0
; COMPUTE_PGM_RSRC2:TGID_X_EN: 1
; COMPUTE_PGM_RSRC2:TGID_Y_EN: 1
; COMPUTE_PGM_RSRC2:TGID_Z_EN: 1
; COMPUTE_PGM_RSRC2:TIDIG_COMP_CNT: 1
; COMPUTE_PGM_RSRC3_GFX90A:ACCUM_OFFSET: 8
; COMPUTE_PGM_RSRC3_GFX90A:TG_SPLIT: 0
	.section	.text._ZN9rocsolver6v33100L11gemm_kernelIdiPKdPdPKS4_S4_EEvT0_S7_S7_T1_bT2_lS7_S7_lbT3_lS7_S7_lS8_T4_lS7_S7_l,"axG",@progbits,_ZN9rocsolver6v33100L11gemm_kernelIdiPKdPdPKS4_S4_EEvT0_S7_S7_T1_bT2_lS7_S7_lbT3_lS7_S7_lS8_T4_lS7_S7_l,comdat
	.globl	_ZN9rocsolver6v33100L11gemm_kernelIdiPKdPdPKS4_S4_EEvT0_S7_S7_T1_bT2_lS7_S7_lbT3_lS7_S7_lS8_T4_lS7_S7_l ; -- Begin function _ZN9rocsolver6v33100L11gemm_kernelIdiPKdPdPKS4_S4_EEvT0_S7_S7_T1_bT2_lS7_S7_lbT3_lS7_S7_lS8_T4_lS7_S7_l
	.p2align	8
	.type	_ZN9rocsolver6v33100L11gemm_kernelIdiPKdPdPKS4_S4_EEvT0_S7_S7_T1_bT2_lS7_S7_lbT3_lS7_S7_lS8_T4_lS7_S7_l,@function
_ZN9rocsolver6v33100L11gemm_kernelIdiPKdPdPKS4_S4_EEvT0_S7_S7_T1_bT2_lS7_S7_lbT3_lS7_S7_lS8_T4_lS7_S7_l: ; @_ZN9rocsolver6v33100L11gemm_kernelIdiPKdPdPKS4_S4_EEvT0_S7_S7_T1_bT2_lS7_S7_lbT3_lS7_S7_lS8_T4_lS7_S7_l
; %bb.0:
	s_load_dword s0, s[4:5], 0x9c
	s_load_dwordx4 s[20:23], s[4:5], 0x0
	v_and_b32_e32 v1, 0x3ff, v0
	v_bfe_u32 v0, v0, 10, 10
	s_waitcnt lgkmcnt(0)
	s_and_b32 s1, s0, 0xffff
	s_lshr_b32 s0, s0, 16
	s_mul_i32 s7, s7, s0
	s_mul_i32 s6, s6, s1
	v_add_u32_e32 v6, s6, v1
	v_add_u32_e32 v7, s7, v0
	v_cmp_gt_i32_e32 vcc, s20, v6
	v_cmp_gt_i32_e64 s[0:1], s21, v7
	s_and_b64 s[0:1], vcc, s[0:1]
	s_and_saveexec_b64 s[2:3], s[0:1]
	s_cbranch_execz .LBB27_6
; %bb.1:
	s_load_dwordx2 s[6:7], s[4:5], 0x78
	s_load_dwordx2 s[10:11], s[4:5], 0x10
	s_load_dwordx4 s[0:3], s[4:5], 0x68
	s_ashr_i32 s9, s8, 31
	s_cmp_lt_i32 s22, 1
	s_cbranch_scc1 .LBB27_4
; %bb.2:
	s_load_dwordx4 s[24:27], s[4:5], 0x48
	s_load_dwordx8 s[12:19], s[4:5], 0x20
	s_load_dwordx2 s[20:21], s[4:5], 0x58
	s_lshl_b64 s[28:29], s[8:9], 3
	s_waitcnt lgkmcnt(0)
	s_add_u32 s24, s24, s28
	s_addc_u32 s25, s25, s29
	s_load_dwordx2 s[24:25], s[24:25], 0x0
	v_mul_lo_u32 v2, v7, s21
	s_lshl_b64 s[26:27], s[26:27], 3
	v_ashrrev_i32_e32 v3, 31, v2
	v_mul_lo_u32 v0, v6, s16
	v_lshlrev_b64 v[2:3], 3, v[2:3]
	s_waitcnt lgkmcnt(0)
	s_add_u32 s16, s24, s26
	v_add_co_u32_e32 v2, vcc, s16, v2
	s_mul_i32 s16, s18, s9
	s_mul_hi_u32 s23, s18, s8
	s_addc_u32 s21, s25, s27
	s_add_i32 s16, s23, s16
	s_mul_i32 s19, s19, s8
	v_mov_b32_e32 v1, s21
	s_ashr_i32 s21, s20, 31
	s_add_i32 s19, s16, s19
	s_mul_i32 s18, s18, s8
	s_lshl_b64 s[20:21], s[20:21], 3
	s_lshl_b64 s[18:19], s[18:19], 3
	;; [unrolled: 1-line block ×3, first 2 shown]
	s_add_u32 s14, s18, s14
	s_addc_u32 s15, s19, s15
	v_addc_co_u32_e32 v3, vcc, v1, v3, vcc
	v_ashrrev_i32_e32 v1, 31, v0
	s_add_u32 s12, s12, s14
	v_lshlrev_b64 v[0:1], 3, v[0:1]
	s_addc_u32 s13, s13, s15
	v_mov_b32_e32 v5, s13
	v_add_co_u32_e32 v4, vcc, s12, v0
	s_ashr_i32 s13, s17, 31
	s_mov_b32 s12, s17
	s_lshl_b64 s[12:13], s[12:13], 3
	v_addc_co_u32_e32 v5, vcc, v5, v1, vcc
	v_pk_mov_b32 v[0:1], 0, 0
	v_mov_b32_e32 v8, s21
	v_mov_b32_e32 v9, s13
.LBB27_3:                               ; =>This Inner Loop Header: Depth=1
	global_load_dwordx2 v[10:11], v[4:5], off
	global_load_dwordx2 v[12:13], v[2:3], off
	v_add_co_u32_e32 v2, vcc, s20, v2
	v_addc_co_u32_e32 v3, vcc, v3, v8, vcc
	v_add_co_u32_e32 v4, vcc, s12, v4
	s_add_i32 s22, s22, -1
	v_addc_co_u32_e32 v5, vcc, v5, v9, vcc
	s_cmp_eq_u32 s22, 0
	s_waitcnt vmcnt(0)
	v_fmac_f64_e32 v[0:1], v[10:11], v[12:13]
	s_cbranch_scc0 .LBB27_3
	s_branch .LBB27_5
.LBB27_4:
	v_pk_mov_b32 v[0:1], 0, 0
.LBB27_5:
	s_waitcnt lgkmcnt(0)
	s_load_dwordx2 s[12:13], s[10:11], 0x0
	s_load_dwordx2 s[14:15], s[0:1], 0x0
                                        ; kill: killed $sgpr0_sgpr1
                                        ; kill: killed $sgpr10_sgpr11
	s_load_dwordx4 s[16:19], s[4:5], 0x80
	s_waitcnt lgkmcnt(0)
	s_mul_i32 s1, s8, s19
	s_mul_hi_u32 s4, s8, s18
	s_mul_i32 s5, s9, s18
	s_add_i32 s1, s4, s1
	s_mul_i32 s0, s8, s18
	s_add_i32 s1, s1, s5
	s_lshl_b64 s[0:1], s[0:1], 3
	s_add_u32 s2, s2, s0
	s_addc_u32 s3, s3, s1
	s_lshl_b64 s[0:1], s[6:7], 3
	s_add_u32 s2, s2, s0
	v_mul_lo_u32 v2, v6, s16
	s_addc_u32 s3, s3, s1
	v_mad_u64_u32 v[2:3], s[0:1], v7, s17, v[2:3]
	v_ashrrev_i32_e32 v3, 31, v2
	v_lshlrev_b64 v[2:3], 3, v[2:3]
	v_mov_b32_e32 v4, s3
	v_add_co_u32_e32 v2, vcc, s2, v2
	v_addc_co_u32_e32 v3, vcc, v4, v3, vcc
	global_load_dwordx2 v[4:5], v[2:3], off
	s_waitcnt vmcnt(0)
	v_mul_f64 v[4:5], s[14:15], v[4:5]
	v_fmac_f64_e32 v[4:5], s[12:13], v[0:1]
	global_store_dwordx2 v[2:3], v[4:5], off
.LBB27_6:
	s_endpgm
	.section	.rodata,"a",@progbits
	.p2align	6, 0x0
	.amdhsa_kernel _ZN9rocsolver6v33100L11gemm_kernelIdiPKdPdPKS4_S4_EEvT0_S7_S7_T1_bT2_lS7_S7_lbT3_lS7_S7_lS8_T4_lS7_S7_l
		.amdhsa_group_segment_fixed_size 0
		.amdhsa_private_segment_fixed_size 0
		.amdhsa_kernarg_size 400
		.amdhsa_user_sgpr_count 6
		.amdhsa_user_sgpr_private_segment_buffer 1
		.amdhsa_user_sgpr_dispatch_ptr 0
		.amdhsa_user_sgpr_queue_ptr 0
		.amdhsa_user_sgpr_kernarg_segment_ptr 1
		.amdhsa_user_sgpr_dispatch_id 0
		.amdhsa_user_sgpr_flat_scratch_init 0
		.amdhsa_user_sgpr_kernarg_preload_length 0
		.amdhsa_user_sgpr_kernarg_preload_offset 0
		.amdhsa_user_sgpr_private_segment_size 0
		.amdhsa_uses_dynamic_stack 0
		.amdhsa_system_sgpr_private_segment_wavefront_offset 0
		.amdhsa_system_sgpr_workgroup_id_x 1
		.amdhsa_system_sgpr_workgroup_id_y 1
		.amdhsa_system_sgpr_workgroup_id_z 1
		.amdhsa_system_sgpr_workgroup_info 0
		.amdhsa_system_vgpr_workitem_id 1
		.amdhsa_next_free_vgpr 14
		.amdhsa_next_free_sgpr 30
		.amdhsa_accum_offset 16
		.amdhsa_reserve_vcc 1
		.amdhsa_reserve_flat_scratch 0
		.amdhsa_float_round_mode_32 0
		.amdhsa_float_round_mode_16_64 0
		.amdhsa_float_denorm_mode_32 3
		.amdhsa_float_denorm_mode_16_64 3
		.amdhsa_dx10_clamp 1
		.amdhsa_ieee_mode 1
		.amdhsa_fp16_overflow 0
		.amdhsa_tg_split 0
		.amdhsa_exception_fp_ieee_invalid_op 0
		.amdhsa_exception_fp_denorm_src 0
		.amdhsa_exception_fp_ieee_div_zero 0
		.amdhsa_exception_fp_ieee_overflow 0
		.amdhsa_exception_fp_ieee_underflow 0
		.amdhsa_exception_fp_ieee_inexact 0
		.amdhsa_exception_int_div_zero 0
	.end_amdhsa_kernel
	.section	.text._ZN9rocsolver6v33100L11gemm_kernelIdiPKdPdPKS4_S4_EEvT0_S7_S7_T1_bT2_lS7_S7_lbT3_lS7_S7_lS8_T4_lS7_S7_l,"axG",@progbits,_ZN9rocsolver6v33100L11gemm_kernelIdiPKdPdPKS4_S4_EEvT0_S7_S7_T1_bT2_lS7_S7_lbT3_lS7_S7_lS8_T4_lS7_S7_l,comdat
.Lfunc_end27:
	.size	_ZN9rocsolver6v33100L11gemm_kernelIdiPKdPdPKS4_S4_EEvT0_S7_S7_T1_bT2_lS7_S7_lbT3_lS7_S7_lS8_T4_lS7_S7_l, .Lfunc_end27-_ZN9rocsolver6v33100L11gemm_kernelIdiPKdPdPKS4_S4_EEvT0_S7_S7_T1_bT2_lS7_S7_lbT3_lS7_S7_lS8_T4_lS7_S7_l
                                        ; -- End function
	.section	.AMDGPU.csdata,"",@progbits
; Kernel info:
; codeLenInByte = 556
; NumSgprs: 34
; NumVgprs: 14
; NumAgprs: 0
; TotalNumVgprs: 14
; ScratchSize: 0
; MemoryBound: 0
; FloatMode: 240
; IeeeMode: 1
; LDSByteSize: 0 bytes/workgroup (compile time only)
; SGPRBlocks: 4
; VGPRBlocks: 1
; NumSGPRsForWavesPerEU: 34
; NumVGPRsForWavesPerEU: 14
; AccumOffset: 16
; Occupancy: 8
; WaveLimiterHint : 1
; COMPUTE_PGM_RSRC2:SCRATCH_EN: 0
; COMPUTE_PGM_RSRC2:USER_SGPR: 6
; COMPUTE_PGM_RSRC2:TRAP_HANDLER: 0
; COMPUTE_PGM_RSRC2:TGID_X_EN: 1
; COMPUTE_PGM_RSRC2:TGID_Y_EN: 1
; COMPUTE_PGM_RSRC2:TGID_Z_EN: 1
; COMPUTE_PGM_RSRC2:TIDIG_COMP_CNT: 1
; COMPUTE_PGM_RSRC3_GFX90A:ACCUM_OFFSET: 3
; COMPUTE_PGM_RSRC3_GFX90A:TG_SPLIT: 0
	.section	.text._ZN9rocsolver6v33100L11gemm_kernelIdidPdPKS2_S2_EEvT0_S5_S5_T1_bT2_lS5_S5_lbT3_lS5_S5_lS6_T4_lS5_S5_l,"axG",@progbits,_ZN9rocsolver6v33100L11gemm_kernelIdidPdPKS2_S2_EEvT0_S5_S5_T1_bT2_lS5_S5_lbT3_lS5_S5_lS6_T4_lS5_S5_l,comdat
	.globl	_ZN9rocsolver6v33100L11gemm_kernelIdidPdPKS2_S2_EEvT0_S5_S5_T1_bT2_lS5_S5_lbT3_lS5_S5_lS6_T4_lS5_S5_l ; -- Begin function _ZN9rocsolver6v33100L11gemm_kernelIdidPdPKS2_S2_EEvT0_S5_S5_T1_bT2_lS5_S5_lbT3_lS5_S5_lS6_T4_lS5_S5_l
	.p2align	8
	.type	_ZN9rocsolver6v33100L11gemm_kernelIdidPdPKS2_S2_EEvT0_S5_S5_T1_bT2_lS5_S5_lbT3_lS5_S5_lS6_T4_lS5_S5_l,@function
_ZN9rocsolver6v33100L11gemm_kernelIdidPdPKS2_S2_EEvT0_S5_S5_T1_bT2_lS5_S5_lbT3_lS5_S5_lS6_T4_lS5_S5_l: ; @_ZN9rocsolver6v33100L11gemm_kernelIdidPdPKS2_S2_EEvT0_S5_S5_T1_bT2_lS5_S5_lbT3_lS5_S5_lS6_T4_lS5_S5_l
; %bb.0:
	s_load_dword s9, s[4:5], 0x9c
	s_load_dwordx4 s[0:3], s[4:5], 0x0
	v_and_b32_e32 v1, 0x3ff, v0
	v_bfe_u32 v0, v0, 10, 10
	s_waitcnt lgkmcnt(0)
	s_and_b32 s3, s9, 0xffff
	s_lshr_b32 s9, s9, 16
	s_mul_i32 s7, s7, s9
	s_mul_i32 s6, s6, s3
	v_add_u32_e32 v6, s6, v1
	v_add_u32_e32 v7, s7, v0
	v_cmp_gt_i32_e32 vcc, s0, v6
	v_cmp_gt_i32_e64 s[0:1], s1, v7
	s_and_b64 s[0:1], vcc, s[0:1]
	s_and_saveexec_b64 s[6:7], s[0:1]
	s_cbranch_execz .LBB28_6
; %bb.1:
	s_ashr_i32 s9, s8, 31
	s_cmp_lt_i32 s2, 1
	s_cbranch_scc1 .LBB28_4
; %bb.2:
	s_load_dwordx4 s[20:23], s[4:5], 0x48
	s_load_dwordx8 s[12:19], s[4:5], 0x20
	s_load_dwordx2 s[0:1], s[4:5], 0x58
	s_lshl_b64 s[6:7], s[8:9], 3
	s_waitcnt lgkmcnt(0)
	s_add_u32 s6, s20, s6
	s_addc_u32 s7, s21, s7
	s_load_dwordx2 s[6:7], s[6:7], 0x0
	s_lshl_b64 s[10:11], s[22:23], 3
	v_mul_lo_u32 v2, v7, s1
	v_ashrrev_i32_e32 v3, 31, v2
	v_lshlrev_b64 v[2:3], 3, v[2:3]
	s_waitcnt lgkmcnt(0)
	s_add_u32 s1, s6, s10
	s_addc_u32 s3, s7, s11
	v_mov_b32_e32 v1, s3
	s_mul_i32 s3, s18, s9
	s_mul_hi_u32 s6, s18, s8
	s_add_i32 s3, s6, s3
	s_mul_i32 s6, s19, s8
	v_add_co_u32_e32 v2, vcc, s1, v2
	s_ashr_i32 s1, s0, 31
	s_add_i32 s7, s3, s6
	s_mul_i32 s6, s18, s8
	s_lshl_b64 s[0:1], s[0:1], 3
	s_lshl_b64 s[6:7], s[6:7], 3
	;; [unrolled: 1-line block ×3, first 2 shown]
	s_add_u32 s3, s6, s10
	s_addc_u32 s6, s7, s11
	v_mul_lo_u32 v0, v6, s16
	s_add_u32 s3, s12, s3
	v_addc_co_u32_e32 v3, vcc, v1, v3, vcc
	v_ashrrev_i32_e32 v1, 31, v0
	s_addc_u32 s6, s13, s6
	v_lshlrev_b64 v[0:1], 3, v[0:1]
	v_mov_b32_e32 v5, s6
	s_ashr_i32 s7, s17, 31
	s_mov_b32 s6, s17
	v_add_co_u32_e32 v4, vcc, s3, v0
	s_lshl_b64 s[6:7], s[6:7], 3
	v_addc_co_u32_e32 v5, vcc, v5, v1, vcc
	v_pk_mov_b32 v[0:1], 0, 0
	v_mov_b32_e32 v8, s1
	v_mov_b32_e32 v9, s7
.LBB28_3:                               ; =>This Inner Loop Header: Depth=1
	global_load_dwordx2 v[10:11], v[4:5], off
	global_load_dwordx2 v[12:13], v[2:3], off
	v_add_co_u32_e32 v2, vcc, s0, v2
	v_addc_co_u32_e32 v3, vcc, v3, v8, vcc
	v_add_co_u32_e32 v4, vcc, s6, v4
	s_add_i32 s2, s2, -1
	v_addc_co_u32_e32 v5, vcc, v5, v9, vcc
	s_cmp_eq_u32 s2, 0
	s_waitcnt vmcnt(0)
	v_fmac_f64_e32 v[0:1], v[10:11], v[12:13]
	s_cbranch_scc0 .LBB28_3
	s_branch .LBB28_5
.LBB28_4:
	v_pk_mov_b32 v[0:1], 0, 0
.LBB28_5:
	s_load_dwordx2 s[0:1], s[4:5], 0x88
	s_load_dwordx8 s[12:19], s[4:5], 0x68
	s_waitcnt lgkmcnt(0)
	s_mul_i32 s1, s8, s1
	s_mul_hi_u32 s2, s8, s0
	s_mul_i32 s3, s9, s0
	s_add_i32 s1, s2, s1
	s_mul_i32 s0, s8, s0
	s_add_i32 s1, s1, s3
	s_lshl_b64 s[0:1], s[0:1], 3
	s_add_u32 s2, s14, s0
	s_addc_u32 s3, s15, s1
	s_lshl_b64 s[0:1], s[16:17], 3
	s_add_u32 s2, s2, s0
	v_mul_lo_u32 v2, v6, s18
	s_addc_u32 s3, s3, s1
	v_mad_u64_u32 v[2:3], s[0:1], v7, s19, v[2:3]
	v_ashrrev_i32_e32 v3, 31, v2
	v_lshlrev_b64 v[2:3], 3, v[2:3]
	v_mov_b32_e32 v4, s3
	v_add_co_u32_e32 v2, vcc, s2, v2
	v_addc_co_u32_e32 v3, vcc, v4, v3, vcc
	global_load_dwordx2 v[4:5], v[2:3], off
	s_load_dwordx2 s[0:1], s[4:5], 0x10
	s_waitcnt vmcnt(0)
	v_mul_f64 v[4:5], v[4:5], s[12:13]
	s_waitcnt lgkmcnt(0)
	v_fmac_f64_e32 v[4:5], s[0:1], v[0:1]
	global_store_dwordx2 v[2:3], v[4:5], off
.LBB28_6:
	s_endpgm
	.section	.rodata,"a",@progbits
	.p2align	6, 0x0
	.amdhsa_kernel _ZN9rocsolver6v33100L11gemm_kernelIdidPdPKS2_S2_EEvT0_S5_S5_T1_bT2_lS5_S5_lbT3_lS5_S5_lS6_T4_lS5_S5_l
		.amdhsa_group_segment_fixed_size 0
		.amdhsa_private_segment_fixed_size 0
		.amdhsa_kernarg_size 400
		.amdhsa_user_sgpr_count 6
		.amdhsa_user_sgpr_private_segment_buffer 1
		.amdhsa_user_sgpr_dispatch_ptr 0
		.amdhsa_user_sgpr_queue_ptr 0
		.amdhsa_user_sgpr_kernarg_segment_ptr 1
		.amdhsa_user_sgpr_dispatch_id 0
		.amdhsa_user_sgpr_flat_scratch_init 0
		.amdhsa_user_sgpr_kernarg_preload_length 0
		.amdhsa_user_sgpr_kernarg_preload_offset 0
		.amdhsa_user_sgpr_private_segment_size 0
		.amdhsa_uses_dynamic_stack 0
		.amdhsa_system_sgpr_private_segment_wavefront_offset 0
		.amdhsa_system_sgpr_workgroup_id_x 1
		.amdhsa_system_sgpr_workgroup_id_y 1
		.amdhsa_system_sgpr_workgroup_id_z 1
		.amdhsa_system_sgpr_workgroup_info 0
		.amdhsa_system_vgpr_workitem_id 1
		.amdhsa_next_free_vgpr 14
		.amdhsa_next_free_sgpr 24
		.amdhsa_accum_offset 16
		.amdhsa_reserve_vcc 1
		.amdhsa_reserve_flat_scratch 0
		.amdhsa_float_round_mode_32 0
		.amdhsa_float_round_mode_16_64 0
		.amdhsa_float_denorm_mode_32 3
		.amdhsa_float_denorm_mode_16_64 3
		.amdhsa_dx10_clamp 1
		.amdhsa_ieee_mode 1
		.amdhsa_fp16_overflow 0
		.amdhsa_tg_split 0
		.amdhsa_exception_fp_ieee_invalid_op 0
		.amdhsa_exception_fp_denorm_src 0
		.amdhsa_exception_fp_ieee_div_zero 0
		.amdhsa_exception_fp_ieee_overflow 0
		.amdhsa_exception_fp_ieee_underflow 0
		.amdhsa_exception_fp_ieee_inexact 0
		.amdhsa_exception_int_div_zero 0
	.end_amdhsa_kernel
	.section	.text._ZN9rocsolver6v33100L11gemm_kernelIdidPdPKS2_S2_EEvT0_S5_S5_T1_bT2_lS5_S5_lbT3_lS5_S5_lS6_T4_lS5_S5_l,"axG",@progbits,_ZN9rocsolver6v33100L11gemm_kernelIdidPdPKS2_S2_EEvT0_S5_S5_T1_bT2_lS5_S5_lbT3_lS5_S5_lS6_T4_lS5_S5_l,comdat
.Lfunc_end28:
	.size	_ZN9rocsolver6v33100L11gemm_kernelIdidPdPKS2_S2_EEvT0_S5_S5_T1_bT2_lS5_S5_lbT3_lS5_S5_lS6_T4_lS5_S5_l, .Lfunc_end28-_ZN9rocsolver6v33100L11gemm_kernelIdidPdPKS2_S2_EEvT0_S5_S5_T1_bT2_lS5_S5_lbT3_lS5_S5_lS6_T4_lS5_S5_l
                                        ; -- End function
	.section	.AMDGPU.csdata,"",@progbits
; Kernel info:
; codeLenInByte = 532
; NumSgprs: 28
; NumVgprs: 14
; NumAgprs: 0
; TotalNumVgprs: 14
; ScratchSize: 0
; MemoryBound: 0
; FloatMode: 240
; IeeeMode: 1
; LDSByteSize: 0 bytes/workgroup (compile time only)
; SGPRBlocks: 3
; VGPRBlocks: 1
; NumSGPRsForWavesPerEU: 28
; NumVGPRsForWavesPerEU: 14
; AccumOffset: 16
; Occupancy: 8
; WaveLimiterHint : 1
; COMPUTE_PGM_RSRC2:SCRATCH_EN: 0
; COMPUTE_PGM_RSRC2:USER_SGPR: 6
; COMPUTE_PGM_RSRC2:TRAP_HANDLER: 0
; COMPUTE_PGM_RSRC2:TGID_X_EN: 1
; COMPUTE_PGM_RSRC2:TGID_Y_EN: 1
; COMPUTE_PGM_RSRC2:TGID_Z_EN: 1
; COMPUTE_PGM_RSRC2:TIDIG_COMP_CNT: 1
; COMPUTE_PGM_RSRC3_GFX90A:ACCUM_OFFSET: 3
; COMPUTE_PGM_RSRC3_GFX90A:TG_SPLIT: 0
	.section	.text._ZN9rocsolver6v33100L16mfma_gemm_kernelIdiPKdPdS4_PKS4_EEv18rocblas_operation_S7_T0_S8_S8_T1_T2_lS8_S8_lT3_lS8_S8_lS9_T4_lS8_S8_l,"axG",@progbits,_ZN9rocsolver6v33100L16mfma_gemm_kernelIdiPKdPdS4_PKS4_EEv18rocblas_operation_S7_T0_S8_S8_T1_T2_lS8_S8_lT3_lS8_S8_lS9_T4_lS8_S8_l,comdat
	.globl	_ZN9rocsolver6v33100L16mfma_gemm_kernelIdiPKdPdS4_PKS4_EEv18rocblas_operation_S7_T0_S8_S8_T1_T2_lS8_S8_lT3_lS8_S8_lS9_T4_lS8_S8_l ; -- Begin function _ZN9rocsolver6v33100L16mfma_gemm_kernelIdiPKdPdS4_PKS4_EEv18rocblas_operation_S7_T0_S8_S8_T1_T2_lS8_S8_lT3_lS8_S8_lS9_T4_lS8_S8_l
	.p2align	8
	.type	_ZN9rocsolver6v33100L16mfma_gemm_kernelIdiPKdPdS4_PKS4_EEv18rocblas_operation_S7_T0_S8_S8_T1_T2_lS8_S8_lT3_lS8_S8_lS9_T4_lS8_S8_l,@function
_ZN9rocsolver6v33100L16mfma_gemm_kernelIdiPKdPdS4_PKS4_EEv18rocblas_operation_S7_T0_S8_S8_T1_T2_lS8_S8_lT3_lS8_S8_lS9_T4_lS8_S8_l: ; @_ZN9rocsolver6v33100L16mfma_gemm_kernelIdiPKdPdS4_PKS4_EEv18rocblas_operation_S7_T0_S8_S8_T1_T2_lS8_S8_lT3_lS8_S8_lS9_T4_lS8_S8_l
; %bb.0:
	s_load_dword s0, s[4:5], 0x94
	s_load_dwordx4 s[28:31], s[4:5], 0x0
	v_and_b32_e32 v22, 0x3ff, v0
	v_bfe_u32 v0, v0, 10, 10
	v_lshrrev_b32_e32 v1, 6, v22
	s_waitcnt lgkmcnt(0)
	s_lshr_b32 s1, s0, 16
	s_bfe_u32 s0, s0, 0xa0006
	s_mul_i32 s7, s7, s1
	s_mul_i32 s6, s6, s0
	v_add_u32_e32 v0, s7, v0
	v_add_lshl_u32 v23, s6, v1, 4
	v_lshlrev_b32_e32 v24, 4, v0
	v_cmp_gt_i32_e32 vcc, s30, v23
	v_cmp_gt_i32_e64 s[0:1], s31, v24
	s_and_b64 s[0:1], vcc, s[0:1]
	s_and_saveexec_b64 s[2:3], s[0:1]
	s_cbranch_execz .LBB29_36
; %bb.1:
	s_ashr_i32 s6, s30, 31
	s_lshr_b32 s6, s6, 28
	s_add_i32 s6, s30, s6
	s_and_b32 s6, s6, -16
	s_load_dword s33, s[4:5], 0x10
	s_load_dwordx4 s[0:3], s[4:5], 0x18
	s_load_dwordx8 s[12:19], s[4:5], 0x58
	s_sub_i32 s6, s30, s6
	v_mov_b32_e32 v1, s6
	s_ashr_i32 s6, s31, 31
	s_lshr_b32 s6, s6, 28
	v_add_u32_e32 v0, 16, v23
	s_add_i32 s6, s31, s6
	v_cmp_lt_i32_e32 vcc, s30, v0
	v_add_u32_e32 v0, 16, v24
	s_and_b32 s6, s6, -16
	s_ashr_i32 s9, s8, 31
	v_cndmask_b32_e32 v20, 16, v1, vcc
	s_sub_i32 s6, s31, s6
	v_cmp_lt_i32_e32 vcc, s31, v0
	s_waitcnt lgkmcnt(0)
	s_load_dwordx2 s[10:11], s[0:1], 0x0
	s_load_dwordx2 s[30:31], s[14:15], 0x0
	s_lshl_b64 s[0:1], s[8:9], 3
	s_add_u32 s0, s16, s0
	s_addc_u32 s1, s17, s1
	s_load_dwordx2 s[14:15], s[0:1], 0x0
	v_mov_b32_e32 v1, s6
	v_cndmask_b32_e32 v25, 16, v1, vcc
	v_bfe_u32 v26, v22, 2, 4
	v_pk_mov_b32 v[6:7], 0, 0
	v_and_b32_e32 v21, 3, v22
	s_cmp_lt_i32 s33, 1
	v_cmp_lt_i32_e64 s[0:1], v26, v25
	v_mbcnt_lo_u32_b32 v27, -1, 0
	v_pk_mov_b32 v[4:5], v[6:7], v[6:7] op_sel:[0,1]
	v_pk_mov_b32 v[2:3], v[6:7], v[6:7] op_sel:[0,1]
	;; [unrolled: 1-line block ×3, first 2 shown]
	s_cbranch_scc1 .LBB29_28
; %bb.2:
	s_load_dwordx8 s[20:27], s[4:5], 0x28
	s_load_dwordx4 s[36:39], s[4:5], 0x48
	v_and_b32_e32 v2, 63, v22
	v_lshrrev_b32_e32 v32, 4, v2
	s_waitcnt lgkmcnt(0)
	s_mul_i32 s6, s8, s25
	s_mul_hi_u32 s7, s8, s24
	s_mul_i32 s16, s9, s24
	s_add_i32 s6, s7, s6
	s_add_i32 s7, s6, s16
	s_mul_i32 s6, s8, s24
	s_lshl_b64 s[6:7], s[6:7], 3
	s_add_u32 s6, s2, s6
	s_addc_u32 s7, s3, s7
	s_lshl_b64 s[2:3], s[20:21], 3
	s_add_u32 s6, s6, s2
	s_addc_u32 s7, s7, s3
	s_mul_i32 s2, s8, s13
	s_mul_hi_u32 s3, s8, s12
	s_add_i32 s2, s3, s2
	s_mul_i32 s3, s9, s12
	s_add_i32 s3, s2, s3
	s_mul_i32 s2, s8, s12
	s_lshl_b64 s[2:3], s[2:3], 3
	s_add_u32 s8, s26, s2
	s_addc_u32 s9, s27, s3
	s_lshl_b64 s[2:3], s[36:37], 3
	s_add_u32 s2, s8, s2
	s_addc_u32 s3, s9, s3
	s_cmpk_lg_i32 s28, 0x6f
	s_cselect_b64 s[12:13], -1, 0
	s_cmpk_eq_i32 s28, 0x6f
	s_cselect_b32 s8, s22, s23
	v_mul_lo_u32 v0, v23, s8
	v_ashrrev_i32_e32 v1, 31, v0
	s_cmpk_lg_i32 s29, 0x6f
	v_lshlrev_b64 v[0:1], 3, v[0:1]
	s_cselect_b64 s[16:17], -1, 0
	s_cmpk_eq_i32 s29, 0x6f
	v_add_co_u32_e32 v28, vcc, s6, v0
	s_cselect_b32 s6, s39, s38
	v_mov_b32_e32 v3, s7
	v_mul_lo_u32 v0, v24, s6
	v_addc_co_u32_e32 v29, vcc, v3, v1, vcc
	v_ashrrev_i32_e32 v1, 31, v0
	v_lshlrev_b64 v[0:1], 3, v[0:1]
	v_mov_b32_e32 v3, s3
	v_add_co_u32_e32 v30, vcc, s2, v0
	v_addc_co_u32_e32 v31, vcc, v3, v1, vcc
	v_and_b32_e32 v1, 15, v22
	v_mul_lo_u32 v0, v1, s22
	v_lshl_or_b32 v3, v1, 2, v32
	v_mul_lo_u32 v2, v1, s38
	v_mad_u64_u32 v[8:9], s[20:21], s23, v32, v[0:1]
	v_mul_lo_u32 v0, s22, v21
	v_mad_u64_u32 v[10:11], s[20:21], v26, s23, v[0:1]
	;; [unrolled: 2-line block ×3, first 2 shown]
	v_mbcnt_hi_u32_b32 v2, -1, v27
	v_cmp_lt_i32_e64 s[6:7], v1, v20
	v_cmp_lt_i32_e64 s[8:9], v1, v25
	v_mad_u64_u32 v[12:13], s[20:21], v26, s39, v[0:1]
	v_pk_mov_b32 v[0:1], 0, 0
	v_and_or_b32 v2, v2, 64, v3
	v_cmp_lt_i32_e64 s[2:3], v26, v20
	s_lshl_b32 s24, s23, 2
	s_lshl_b32 s25, s22, 2
	s_lshl_b32 s26, s38, 2
	s_lshl_b32 s27, s39, 2
	s_mov_b32 s28, 0
	v_lshlrev_b32_e32 v33, 2, v2
	v_pk_mov_b32 v[2:3], v[0:1], v[0:1] op_sel:[0,1]
	v_pk_mov_b32 v[4:5], v[0:1], v[0:1] op_sel:[0,1]
	;; [unrolled: 1-line block ×3, first 2 shown]
	s_branch .LBB29_6
.LBB29_3:                               ;   in Loop: Header=BB29_6 Depth=1
	s_or_b64 exec, exec, s[22:23]
.LBB29_4:                               ;   in Loop: Header=BB29_6 Depth=1
	s_or_b64 exec, exec, s[20:21]
	s_waitcnt vmcnt(0)
	ds_bpermute_b32 v18, v33, v18
	ds_bpermute_b32 v19, v33, v19
.LBB29_5:                               ;   in Loop: Header=BB29_6 Depth=1
	s_waitcnt vmcnt(0) lgkmcnt(0)
	v_mfma_f64_16x16x4f64 v[0:7], v[16:17], v[18:19], v[0:7]
	s_add_i32 s28, s28, 4
	s_cmp_ge_i32 s28, s33
	v_add_u32_e32 v8, s24, v8
	v_add_u32_e32 v10, s25, v10
	;; [unrolled: 1-line block ×4, first 2 shown]
	s_cbranch_scc1 .LBB29_28
.LBB29_6:                               ; =>This Inner Loop Header: Depth=1
	s_and_b64 vcc, exec, s[12:13]
	s_cbranch_vccz .LBB29_18
; %bb.7:                                ;   in Loop: Header=BB29_6 Depth=1
	v_pk_mov_b32 v[16:17], 0, 0
	s_and_saveexec_b64 s[20:21], s[2:3]
	s_cbranch_execz .LBB29_11
; %bb.8:                                ;   in Loop: Header=BB29_6 Depth=1
	v_add_u32_e32 v9, s28, v21
	v_cmp_gt_i32_e32 vcc, s33, v9
	v_pk_mov_b32 v[16:17], 0, 0
	s_and_saveexec_b64 s[22:23], vcc
	s_cbranch_execz .LBB29_10
; %bb.9:                                ;   in Loop: Header=BB29_6 Depth=1
	v_ashrrev_i32_e32 v11, 31, v10
	v_lshlrev_b64 v[16:17], 3, v[10:11]
	v_add_co_u32_e32 v16, vcc, v28, v16
	v_addc_co_u32_e32 v17, vcc, v29, v17, vcc
	global_load_dwordx2 v[16:17], v[16:17], off
.LBB29_10:                              ;   in Loop: Header=BB29_6 Depth=1
	s_or_b64 exec, exec, s[22:23]
.LBB29_11:                              ;   in Loop: Header=BB29_6 Depth=1
	s_or_b64 exec, exec, s[20:21]
	s_waitcnt vmcnt(0)
	ds_bpermute_b32 v16, v33, v16
	ds_bpermute_b32 v17, v33, v17
.LBB29_12:                              ;   in Loop: Header=BB29_6 Depth=1
	s_and_b64 vcc, exec, s[16:17]
	s_cbranch_vccz .LBB29_24
.LBB29_13:                              ;   in Loop: Header=BB29_6 Depth=1
	v_pk_mov_b32 v[18:19], 0, 0
	s_and_saveexec_b64 s[20:21], s[8:9]
	s_cbranch_execz .LBB29_17
; %bb.14:                               ;   in Loop: Header=BB29_6 Depth=1
	v_add_u32_e32 v9, s28, v32
	v_cmp_gt_i32_e32 vcc, s33, v9
	v_pk_mov_b32 v[18:19], 0, 0
	s_and_saveexec_b64 s[22:23], vcc
	s_cbranch_execz .LBB29_16
; %bb.15:                               ;   in Loop: Header=BB29_6 Depth=1
	v_ashrrev_i32_e32 v15, 31, v14
	v_lshlrev_b64 v[18:19], 3, v[14:15]
	v_add_co_u32_e32 v18, vcc, v30, v18
	v_addc_co_u32_e32 v19, vcc, v31, v19, vcc
	global_load_dwordx2 v[18:19], v[18:19], off
.LBB29_16:                              ;   in Loop: Header=BB29_6 Depth=1
	s_or_b64 exec, exec, s[22:23]
.LBB29_17:                              ;   in Loop: Header=BB29_6 Depth=1
	s_or_b64 exec, exec, s[20:21]
	s_cbranch_execnz .LBB29_5
	s_branch .LBB29_25
.LBB29_18:                              ;   in Loop: Header=BB29_6 Depth=1
                                        ; implicit-def: $vgpr16_vgpr17
	s_cbranch_execz .LBB29_12
; %bb.19:                               ;   in Loop: Header=BB29_6 Depth=1
	s_waitcnt lgkmcnt(0)
	v_pk_mov_b32 v[16:17], 0, 0
	s_and_saveexec_b64 s[20:21], s[6:7]
	s_cbranch_execz .LBB29_23
; %bb.20:                               ;   in Loop: Header=BB29_6 Depth=1
	v_add_u32_e32 v9, s28, v32
	v_cmp_gt_i32_e32 vcc, s33, v9
	v_pk_mov_b32 v[16:17], 0, 0
	s_and_saveexec_b64 s[22:23], vcc
	s_cbranch_execz .LBB29_22
; %bb.21:                               ;   in Loop: Header=BB29_6 Depth=1
	v_ashrrev_i32_e32 v9, 31, v8
	v_lshlrev_b64 v[16:17], 3, v[8:9]
	v_add_co_u32_e32 v16, vcc, v28, v16
	v_addc_co_u32_e32 v17, vcc, v29, v17, vcc
	global_load_dwordx2 v[16:17], v[16:17], off
.LBB29_22:                              ;   in Loop: Header=BB29_6 Depth=1
	s_or_b64 exec, exec, s[22:23]
.LBB29_23:                              ;   in Loop: Header=BB29_6 Depth=1
	s_or_b64 exec, exec, s[20:21]
	s_and_b64 vcc, exec, s[16:17]
	s_cbranch_vccnz .LBB29_13
.LBB29_24:                              ;   in Loop: Header=BB29_6 Depth=1
                                        ; implicit-def: $vgpr18_vgpr19
.LBB29_25:                              ;   in Loop: Header=BB29_6 Depth=1
	s_waitcnt vmcnt(0)
	v_pk_mov_b32 v[18:19], 0, 0
	s_and_saveexec_b64 s[20:21], s[0:1]
	s_cbranch_execz .LBB29_4
; %bb.26:                               ;   in Loop: Header=BB29_6 Depth=1
	v_add_u32_e32 v9, s28, v21
	v_cmp_gt_i32_e32 vcc, s33, v9
	v_pk_mov_b32 v[18:19], 0, 0
	s_and_saveexec_b64 s[22:23], vcc
	s_cbranch_execz .LBB29_3
; %bb.27:                               ;   in Loop: Header=BB29_6 Depth=1
	v_ashrrev_i32_e32 v13, 31, v12
	v_lshlrev_b64 v[18:19], 3, v[12:13]
	v_add_co_u32_e32 v18, vcc, v30, v18
	v_addc_co_u32_e32 v19, vcc, v31, v19, vcc
	global_load_dwordx2 v[18:19], v[18:19], off
	s_branch .LBB29_3
.LBB29_28:
	s_load_dwordx2 s[2:3], s[4:5], 0x78
	s_lshl_b64 s[0:1], s[18:19], 3
	s_waitcnt lgkmcnt(0)
	s_add_u32 s4, s14, s0
	s_addc_u32 s5, s15, s1
	v_mov_b32_e32 v11, s5
	v_mul_lo_u32 v8, v23, s2
	v_mad_u64_u32 v[8:9], s[0:1], v24, s3, v[8:9]
	v_ashrrev_i32_e32 v9, 31, v8
	v_lshlrev_b64 v[8:9], 3, v[8:9]
	v_add_co_u32_e32 v10, vcc, s4, v8
	v_addc_co_u32_e32 v11, vcc, v11, v9, vcc
	v_lshlrev_b32_e32 v8, 4, v22
	v_mbcnt_hi_u32_b32 v9, -1, v27
	v_and_b32_e32 v8, 48, v8
	v_and_b32_e32 v9, 64, v9
	v_or3_b32 v8, v8, v9, v26
	v_lshlrev_b32_e32 v12, 2, v8
	ds_bpermute_b32 v8, v12, v0
	ds_bpermute_b32 v9, v12, v1
	v_cmp_lt_i32_e32 vcc, v26, v25
	v_cmp_lt_i32_e64 s[0:1], v21, v20
	v_mul_lo_u32 v0, v26, s3
	s_and_b64 s[0:1], vcc, s[0:1]
	s_and_saveexec_b64 s[4:5], s[0:1]
	s_cbranch_execz .LBB29_30
; %bb.29:
	v_mad_u64_u32 v[14:15], s[0:1], v21, s2, v[0:1]
	v_ashrrev_i32_e32 v15, 31, v14
	v_lshlrev_b64 v[14:15], 3, v[14:15]
	v_add_co_u32_e64 v14, s[0:1], v10, v14
	v_addc_co_u32_e64 v15, s[0:1], v11, v15, s[0:1]
	global_load_dwordx2 v[16:17], v[14:15], off
	s_waitcnt vmcnt(0)
	v_mul_f64 v[16:17], s[30:31], v[16:17]
	s_waitcnt lgkmcnt(0)
	v_fmac_f64_e32 v[16:17], s[10:11], v[8:9]
	global_store_dwordx2 v[14:15], v[16:17], off
.LBB29_30:
	s_or_b64 exec, exec, s[4:5]
	ds_bpermute_b32 v2, v12, v2
	ds_bpermute_b32 v3, v12, v3
	v_or_b32_e32 v1, 4, v21
	v_cmp_lt_i32_e64 s[0:1], v1, v20
	s_and_b64 s[0:1], vcc, s[0:1]
	s_and_saveexec_b64 s[4:5], s[0:1]
	s_cbranch_execz .LBB29_32
; %bb.31:
	s_waitcnt lgkmcnt(2)
	v_mad_u64_u32 v[8:9], s[0:1], v1, s2, v[0:1]
	v_ashrrev_i32_e32 v9, 31, v8
	v_lshlrev_b64 v[8:9], 3, v[8:9]
	v_add_co_u32_e64 v8, s[0:1], v10, v8
	v_addc_co_u32_e64 v9, s[0:1], v11, v9, s[0:1]
	global_load_dwordx2 v[14:15], v[8:9], off
	s_waitcnt vmcnt(0)
	v_mul_f64 v[14:15], s[30:31], v[14:15]
	s_waitcnt lgkmcnt(0)
	v_fmac_f64_e32 v[14:15], s[10:11], v[2:3]
	global_store_dwordx2 v[8:9], v[14:15], off
.LBB29_32:
	s_or_b64 exec, exec, s[4:5]
	s_waitcnt lgkmcnt(1)
	ds_bpermute_b32 v2, v12, v4
	s_waitcnt lgkmcnt(1)
	ds_bpermute_b32 v3, v12, v5
	v_or_b32_e32 v1, 8, v21
	v_cmp_lt_i32_e64 s[0:1], v1, v20
	s_and_b64 s[0:1], vcc, s[0:1]
	s_and_saveexec_b64 s[4:5], s[0:1]
	s_cbranch_execz .LBB29_34
; %bb.33:
	v_mad_u64_u32 v[4:5], s[0:1], v1, s2, v[0:1]
	v_ashrrev_i32_e32 v5, 31, v4
	v_lshlrev_b64 v[4:5], 3, v[4:5]
	v_add_co_u32_e64 v4, s[0:1], v10, v4
	v_addc_co_u32_e64 v5, s[0:1], v11, v5, s[0:1]
	global_load_dwordx2 v[8:9], v[4:5], off
	s_waitcnt vmcnt(0)
	v_mul_f64 v[8:9], s[30:31], v[8:9]
	s_waitcnt lgkmcnt(0)
	v_fmac_f64_e32 v[8:9], s[10:11], v[2:3]
	global_store_dwordx2 v[4:5], v[8:9], off
.LBB29_34:
	s_or_b64 exec, exec, s[4:5]
	s_waitcnt lgkmcnt(1)
	ds_bpermute_b32 v2, v12, v6
	s_waitcnt lgkmcnt(1)
	ds_bpermute_b32 v3, v12, v7
	v_or_b32_e32 v1, 12, v21
	v_cmp_lt_i32_e64 s[0:1], v1, v20
	s_and_b64 s[0:1], vcc, s[0:1]
	s_and_b64 exec, exec, s[0:1]
	s_cbranch_execz .LBB29_36
; %bb.35:
	v_mad_u64_u32 v[0:1], s[0:1], v1, s2, v[0:1]
	v_ashrrev_i32_e32 v1, 31, v0
	v_lshlrev_b64 v[0:1], 3, v[0:1]
	v_add_co_u32_e32 v0, vcc, v10, v0
	v_addc_co_u32_e32 v1, vcc, v11, v1, vcc
	global_load_dwordx2 v[4:5], v[0:1], off
	s_waitcnt vmcnt(0)
	v_mul_f64 v[4:5], s[30:31], v[4:5]
	s_waitcnt lgkmcnt(0)
	v_fmac_f64_e32 v[4:5], s[10:11], v[2:3]
	global_store_dwordx2 v[0:1], v[4:5], off
.LBB29_36:
	s_endpgm
	.section	.rodata,"a",@progbits
	.p2align	6, 0x0
	.amdhsa_kernel _ZN9rocsolver6v33100L16mfma_gemm_kernelIdiPKdPdS4_PKS4_EEv18rocblas_operation_S7_T0_S8_S8_T1_T2_lS8_S8_lT3_lS8_S8_lS9_T4_lS8_S8_l
		.amdhsa_group_segment_fixed_size 0
		.amdhsa_private_segment_fixed_size 0
		.amdhsa_kernarg_size 392
		.amdhsa_user_sgpr_count 6
		.amdhsa_user_sgpr_private_segment_buffer 1
		.amdhsa_user_sgpr_dispatch_ptr 0
		.amdhsa_user_sgpr_queue_ptr 0
		.amdhsa_user_sgpr_kernarg_segment_ptr 1
		.amdhsa_user_sgpr_dispatch_id 0
		.amdhsa_user_sgpr_flat_scratch_init 0
		.amdhsa_user_sgpr_kernarg_preload_length 0
		.amdhsa_user_sgpr_kernarg_preload_offset 0
		.amdhsa_user_sgpr_private_segment_size 0
		.amdhsa_uses_dynamic_stack 0
		.amdhsa_system_sgpr_private_segment_wavefront_offset 0
		.amdhsa_system_sgpr_workgroup_id_x 1
		.amdhsa_system_sgpr_workgroup_id_y 1
		.amdhsa_system_sgpr_workgroup_id_z 1
		.amdhsa_system_sgpr_workgroup_info 0
		.amdhsa_system_vgpr_workitem_id 1
		.amdhsa_next_free_vgpr 34
		.amdhsa_next_free_sgpr 40
		.amdhsa_accum_offset 36
		.amdhsa_reserve_vcc 1
		.amdhsa_reserve_flat_scratch 0
		.amdhsa_float_round_mode_32 0
		.amdhsa_float_round_mode_16_64 0
		.amdhsa_float_denorm_mode_32 3
		.amdhsa_float_denorm_mode_16_64 3
		.amdhsa_dx10_clamp 1
		.amdhsa_ieee_mode 1
		.amdhsa_fp16_overflow 0
		.amdhsa_tg_split 0
		.amdhsa_exception_fp_ieee_invalid_op 0
		.amdhsa_exception_fp_denorm_src 0
		.amdhsa_exception_fp_ieee_div_zero 0
		.amdhsa_exception_fp_ieee_overflow 0
		.amdhsa_exception_fp_ieee_underflow 0
		.amdhsa_exception_fp_ieee_inexact 0
		.amdhsa_exception_int_div_zero 0
	.end_amdhsa_kernel
	.section	.text._ZN9rocsolver6v33100L16mfma_gemm_kernelIdiPKdPdS4_PKS4_EEv18rocblas_operation_S7_T0_S8_S8_T1_T2_lS8_S8_lT3_lS8_S8_lS9_T4_lS8_S8_l,"axG",@progbits,_ZN9rocsolver6v33100L16mfma_gemm_kernelIdiPKdPdS4_PKS4_EEv18rocblas_operation_S7_T0_S8_S8_T1_T2_lS8_S8_lT3_lS8_S8_lS9_T4_lS8_S8_l,comdat
.Lfunc_end29:
	.size	_ZN9rocsolver6v33100L16mfma_gemm_kernelIdiPKdPdS4_PKS4_EEv18rocblas_operation_S7_T0_S8_S8_T1_T2_lS8_S8_lT3_lS8_S8_lS9_T4_lS8_S8_l, .Lfunc_end29-_ZN9rocsolver6v33100L16mfma_gemm_kernelIdiPKdPdS4_PKS4_EEv18rocblas_operation_S7_T0_S8_S8_T1_T2_lS8_S8_lT3_lS8_S8_lS9_T4_lS8_S8_l
                                        ; -- End function
	.section	.AMDGPU.csdata,"",@progbits
; Kernel info:
; codeLenInByte = 1716
; NumSgprs: 44
; NumVgprs: 34
; NumAgprs: 0
; TotalNumVgprs: 34
; ScratchSize: 0
; MemoryBound: 0
; FloatMode: 240
; IeeeMode: 1
; LDSByteSize: 0 bytes/workgroup (compile time only)
; SGPRBlocks: 5
; VGPRBlocks: 4
; NumSGPRsForWavesPerEU: 44
; NumVGPRsForWavesPerEU: 34
; AccumOffset: 36
; Occupancy: 8
; WaveLimiterHint : 1
; COMPUTE_PGM_RSRC2:SCRATCH_EN: 0
; COMPUTE_PGM_RSRC2:USER_SGPR: 6
; COMPUTE_PGM_RSRC2:TRAP_HANDLER: 0
; COMPUTE_PGM_RSRC2:TGID_X_EN: 1
; COMPUTE_PGM_RSRC2:TGID_Y_EN: 1
; COMPUTE_PGM_RSRC2:TGID_Z_EN: 1
; COMPUTE_PGM_RSRC2:TIDIG_COMP_CNT: 1
; COMPUTE_PGM_RSRC3_GFX90A:ACCUM_OFFSET: 8
; COMPUTE_PGM_RSRC3_GFX90A:TG_SPLIT: 0
	.section	.text._ZN9rocsolver6v33100L16mfma_gemm_kernelIdidPdS2_PKS2_EEv18rocblas_operation_S5_T0_S6_S6_T1_T2_lS6_S6_lT3_lS6_S6_lS7_T4_lS6_S6_l,"axG",@progbits,_ZN9rocsolver6v33100L16mfma_gemm_kernelIdidPdS2_PKS2_EEv18rocblas_operation_S5_T0_S6_S6_T1_T2_lS6_S6_lT3_lS6_S6_lS7_T4_lS6_S6_l,comdat
	.globl	_ZN9rocsolver6v33100L16mfma_gemm_kernelIdidPdS2_PKS2_EEv18rocblas_operation_S5_T0_S6_S6_T1_T2_lS6_S6_lT3_lS6_S6_lS7_T4_lS6_S6_l ; -- Begin function _ZN9rocsolver6v33100L16mfma_gemm_kernelIdidPdS2_PKS2_EEv18rocblas_operation_S5_T0_S6_S6_T1_T2_lS6_S6_lT3_lS6_S6_lS7_T4_lS6_S6_l
	.p2align	8
	.type	_ZN9rocsolver6v33100L16mfma_gemm_kernelIdidPdS2_PKS2_EEv18rocblas_operation_S5_T0_S6_S6_T1_T2_lS6_S6_lT3_lS6_S6_lS7_T4_lS6_S6_l,@function
_ZN9rocsolver6v33100L16mfma_gemm_kernelIdidPdS2_PKS2_EEv18rocblas_operation_S5_T0_S6_S6_T1_T2_lS6_S6_lT3_lS6_S6_lS7_T4_lS6_S6_l: ; @_ZN9rocsolver6v33100L16mfma_gemm_kernelIdidPdS2_PKS2_EEv18rocblas_operation_S5_T0_S6_S6_T1_T2_lS6_S6_lT3_lS6_S6_lS7_T4_lS6_S6_l
; %bb.0:
	s_load_dword s0, s[4:5], 0x94
	s_load_dwordx4 s[36:39], s[4:5], 0x0
	v_and_b32_e32 v22, 0x3ff, v0
	v_bfe_u32 v0, v0, 10, 10
	v_lshrrev_b32_e32 v1, 6, v22
	s_waitcnt lgkmcnt(0)
	s_lshr_b32 s1, s0, 16
	s_bfe_u32 s0, s0, 0xa0006
	s_mul_i32 s7, s7, s1
	s_mul_i32 s6, s6, s0
	v_add_u32_e32 v0, s7, v0
	v_add_lshl_u32 v23, s6, v1, 4
	v_lshlrev_b32_e32 v24, 4, v0
	v_cmp_gt_i32_e32 vcc, s38, v23
	v_cmp_gt_i32_e64 s[0:1], s39, v24
	s_and_b64 s[0:1], vcc, s[0:1]
	s_and_saveexec_b64 s[2:3], s[0:1]
	s_cbranch_execz .LBB30_36
; %bb.1:
	s_ashr_i32 s0, s38, 31
	s_lshr_b32 s0, s0, 28
	s_add_i32 s0, s38, s0
	s_and_b32 s0, s0, -16
	s_sub_i32 s0, s38, s0
	v_mov_b32_e32 v1, s0
	s_ashr_i32 s0, s39, 31
	s_load_dword s33, s[4:5], 0x10
	s_load_dwordx4 s[28:31], s[4:5], 0x18
	s_load_dwordx2 s[2:3], s[4:5], 0x28
	s_load_dwordx8 s[12:19], s[4:5], 0x58
	s_lshr_b32 s0, s0, 28
	s_add_i32 s0, s39, s0
	v_add_u32_e32 v0, 16, v23
	s_and_b32 s0, s0, -16
	v_cmp_lt_i32_e32 vcc, s38, v0
	s_sub_i32 s0, s39, s0
	s_ashr_i32 s9, s8, 31
	v_cndmask_b32_e32 v20, 16, v1, vcc
	v_mov_b32_e32 v1, s0
	s_lshl_b64 s[0:1], s[8:9], 3
	s_waitcnt lgkmcnt(0)
	s_add_u32 s0, s16, s0
	s_addc_u32 s1, s17, s1
	s_load_dwordx2 s[10:11], s[0:1], 0x0
	v_add_u32_e32 v0, 16, v24
	v_cmp_lt_i32_e32 vcc, s39, v0
	v_cndmask_b32_e32 v25, 16, v1, vcc
	v_bfe_u32 v26, v22, 2, 4
	v_pk_mov_b32 v[6:7], 0, 0
	v_and_b32_e32 v21, 3, v22
	s_cmp_lt_i32 s33, 1
	v_cmp_lt_i32_e64 s[0:1], v26, v25
	v_mbcnt_lo_u32_b32 v27, -1, 0
	v_pk_mov_b32 v[4:5], v[6:7], v[6:7] op_sel:[0,1]
	v_pk_mov_b32 v[2:3], v[6:7], v[6:7] op_sel:[0,1]
	;; [unrolled: 1-line block ×3, first 2 shown]
	s_cbranch_scc1 .LBB30_28
; %bb.2:
	s_load_dwordx8 s[20:27], s[4:5], 0x38
	s_load_dwordx2 s[34:35], s[4:5], 0x30
	v_and_b32_e32 v2, 63, v22
	v_lshrrev_b32_e32 v32, 4, v2
	s_waitcnt lgkmcnt(0)
	s_mul_i32 s6, s8, s21
	s_mul_hi_u32 s7, s8, s20
	s_mul_i32 s16, s9, s20
	s_add_i32 s6, s7, s6
	s_add_i32 s7, s6, s16
	s_mul_i32 s6, s8, s20
	s_lshl_b64 s[6:7], s[6:7], 3
	s_add_u32 s6, s30, s6
	s_addc_u32 s7, s31, s7
	s_lshl_b64 s[2:3], s[2:3], 3
	s_add_u32 s6, s6, s2
	s_addc_u32 s7, s7, s3
	s_mul_i32 s2, s8, s13
	s_mul_hi_u32 s3, s8, s12
	s_add_i32 s2, s3, s2
	s_mul_i32 s3, s9, s12
	s_add_i32 s3, s2, s3
	s_mul_i32 s2, s8, s12
	s_lshl_b64 s[2:3], s[2:3], 3
	s_add_u32 s8, s22, s2
	s_addc_u32 s9, s23, s3
	s_lshl_b64 s[2:3], s[24:25], 3
	s_add_u32 s2, s8, s2
	s_addc_u32 s3, s9, s3
	s_cmpk_lg_i32 s36, 0x6f
	s_cselect_b64 s[12:13], -1, 0
	s_cmpk_eq_i32 s36, 0x6f
	s_cselect_b32 s8, s34, s35
	v_mul_lo_u32 v0, v23, s8
	v_ashrrev_i32_e32 v1, 31, v0
	s_cmpk_lg_i32 s37, 0x6f
	v_lshlrev_b64 v[0:1], 3, v[0:1]
	s_cselect_b64 s[16:17], -1, 0
	s_cmpk_eq_i32 s37, 0x6f
	v_add_co_u32_e32 v28, vcc, s6, v0
	s_cselect_b32 s6, s27, s26
	v_mov_b32_e32 v3, s7
	v_mul_lo_u32 v0, v24, s6
	v_addc_co_u32_e32 v29, vcc, v3, v1, vcc
	v_ashrrev_i32_e32 v1, 31, v0
	v_lshlrev_b64 v[0:1], 3, v[0:1]
	v_mov_b32_e32 v3, s3
	v_add_co_u32_e32 v30, vcc, s2, v0
	v_addc_co_u32_e32 v31, vcc, v3, v1, vcc
	v_and_b32_e32 v1, 15, v22
	v_mul_lo_u32 v0, v1, s34
	v_lshl_or_b32 v3, v1, 2, v32
	v_mul_lo_u32 v2, v1, s26
	v_mad_u64_u32 v[8:9], s[20:21], s35, v32, v[0:1]
	v_mul_lo_u32 v0, s34, v21
	v_mad_u64_u32 v[10:11], s[20:21], v26, s35, v[0:1]
	;; [unrolled: 2-line block ×3, first 2 shown]
	v_mbcnt_hi_u32_b32 v2, -1, v27
	v_cmp_lt_i32_e64 s[6:7], v1, v20
	v_cmp_lt_i32_e64 s[8:9], v1, v25
	v_mad_u64_u32 v[12:13], s[20:21], v26, s27, v[0:1]
	v_pk_mov_b32 v[0:1], 0, 0
	v_and_or_b32 v2, v2, 64, v3
	v_cmp_lt_i32_e64 s[2:3], v26, v20
	s_lshl_b32 s24, s35, 2
	s_lshl_b32 s25, s34, 2
	;; [unrolled: 1-line block ×4, first 2 shown]
	s_mov_b32 s30, 0
	v_lshlrev_b32_e32 v33, 2, v2
	v_pk_mov_b32 v[2:3], v[0:1], v[0:1] op_sel:[0,1]
	v_pk_mov_b32 v[4:5], v[0:1], v[0:1] op_sel:[0,1]
	;; [unrolled: 1-line block ×3, first 2 shown]
	s_branch .LBB30_6
.LBB30_3:                               ;   in Loop: Header=BB30_6 Depth=1
	s_or_b64 exec, exec, s[22:23]
.LBB30_4:                               ;   in Loop: Header=BB30_6 Depth=1
	s_or_b64 exec, exec, s[20:21]
	s_waitcnt vmcnt(0)
	ds_bpermute_b32 v18, v33, v18
	ds_bpermute_b32 v19, v33, v19
.LBB30_5:                               ;   in Loop: Header=BB30_6 Depth=1
	s_waitcnt vmcnt(0) lgkmcnt(0)
	v_mfma_f64_16x16x4f64 v[0:7], v[16:17], v[18:19], v[0:7]
	s_add_i32 s30, s30, 4
	s_cmp_ge_i32 s30, s33
	v_add_u32_e32 v8, s24, v8
	v_add_u32_e32 v10, s25, v10
	;; [unrolled: 1-line block ×4, first 2 shown]
	s_cbranch_scc1 .LBB30_28
.LBB30_6:                               ; =>This Inner Loop Header: Depth=1
	s_and_b64 vcc, exec, s[12:13]
	s_cbranch_vccz .LBB30_18
; %bb.7:                                ;   in Loop: Header=BB30_6 Depth=1
	v_pk_mov_b32 v[16:17], 0, 0
	s_and_saveexec_b64 s[20:21], s[2:3]
	s_cbranch_execz .LBB30_11
; %bb.8:                                ;   in Loop: Header=BB30_6 Depth=1
	v_add_u32_e32 v9, s30, v21
	v_cmp_gt_i32_e32 vcc, s33, v9
	v_pk_mov_b32 v[16:17], 0, 0
	s_and_saveexec_b64 s[22:23], vcc
	s_cbranch_execz .LBB30_10
; %bb.9:                                ;   in Loop: Header=BB30_6 Depth=1
	v_ashrrev_i32_e32 v11, 31, v10
	v_lshlrev_b64 v[16:17], 3, v[10:11]
	v_add_co_u32_e32 v16, vcc, v28, v16
	v_addc_co_u32_e32 v17, vcc, v29, v17, vcc
	global_load_dwordx2 v[16:17], v[16:17], off
.LBB30_10:                              ;   in Loop: Header=BB30_6 Depth=1
	s_or_b64 exec, exec, s[22:23]
.LBB30_11:                              ;   in Loop: Header=BB30_6 Depth=1
	s_or_b64 exec, exec, s[20:21]
	s_waitcnt vmcnt(0)
	ds_bpermute_b32 v16, v33, v16
	ds_bpermute_b32 v17, v33, v17
.LBB30_12:                              ;   in Loop: Header=BB30_6 Depth=1
	s_and_b64 vcc, exec, s[16:17]
	s_cbranch_vccz .LBB30_24
.LBB30_13:                              ;   in Loop: Header=BB30_6 Depth=1
	v_pk_mov_b32 v[18:19], 0, 0
	s_and_saveexec_b64 s[20:21], s[8:9]
	s_cbranch_execz .LBB30_17
; %bb.14:                               ;   in Loop: Header=BB30_6 Depth=1
	v_add_u32_e32 v9, s30, v32
	v_cmp_gt_i32_e32 vcc, s33, v9
	v_pk_mov_b32 v[18:19], 0, 0
	s_and_saveexec_b64 s[22:23], vcc
	s_cbranch_execz .LBB30_16
; %bb.15:                               ;   in Loop: Header=BB30_6 Depth=1
	v_ashrrev_i32_e32 v15, 31, v14
	v_lshlrev_b64 v[18:19], 3, v[14:15]
	v_add_co_u32_e32 v18, vcc, v30, v18
	v_addc_co_u32_e32 v19, vcc, v31, v19, vcc
	global_load_dwordx2 v[18:19], v[18:19], off
.LBB30_16:                              ;   in Loop: Header=BB30_6 Depth=1
	s_or_b64 exec, exec, s[22:23]
.LBB30_17:                              ;   in Loop: Header=BB30_6 Depth=1
	s_or_b64 exec, exec, s[20:21]
	s_cbranch_execnz .LBB30_5
	s_branch .LBB30_25
.LBB30_18:                              ;   in Loop: Header=BB30_6 Depth=1
                                        ; implicit-def: $vgpr16_vgpr17
	s_cbranch_execz .LBB30_12
; %bb.19:                               ;   in Loop: Header=BB30_6 Depth=1
	s_waitcnt lgkmcnt(0)
	v_pk_mov_b32 v[16:17], 0, 0
	s_and_saveexec_b64 s[20:21], s[6:7]
	s_cbranch_execz .LBB30_23
; %bb.20:                               ;   in Loop: Header=BB30_6 Depth=1
	v_add_u32_e32 v9, s30, v32
	v_cmp_gt_i32_e32 vcc, s33, v9
	v_pk_mov_b32 v[16:17], 0, 0
	s_and_saveexec_b64 s[22:23], vcc
	s_cbranch_execz .LBB30_22
; %bb.21:                               ;   in Loop: Header=BB30_6 Depth=1
	v_ashrrev_i32_e32 v9, 31, v8
	v_lshlrev_b64 v[16:17], 3, v[8:9]
	v_add_co_u32_e32 v16, vcc, v28, v16
	v_addc_co_u32_e32 v17, vcc, v29, v17, vcc
	global_load_dwordx2 v[16:17], v[16:17], off
.LBB30_22:                              ;   in Loop: Header=BB30_6 Depth=1
	s_or_b64 exec, exec, s[22:23]
.LBB30_23:                              ;   in Loop: Header=BB30_6 Depth=1
	s_or_b64 exec, exec, s[20:21]
	s_and_b64 vcc, exec, s[16:17]
	s_cbranch_vccnz .LBB30_13
.LBB30_24:                              ;   in Loop: Header=BB30_6 Depth=1
                                        ; implicit-def: $vgpr18_vgpr19
.LBB30_25:                              ;   in Loop: Header=BB30_6 Depth=1
	s_waitcnt vmcnt(0)
	v_pk_mov_b32 v[18:19], 0, 0
	s_and_saveexec_b64 s[20:21], s[0:1]
	s_cbranch_execz .LBB30_4
; %bb.26:                               ;   in Loop: Header=BB30_6 Depth=1
	v_add_u32_e32 v9, s30, v21
	v_cmp_gt_i32_e32 vcc, s33, v9
	v_pk_mov_b32 v[18:19], 0, 0
	s_and_saveexec_b64 s[22:23], vcc
	s_cbranch_execz .LBB30_3
; %bb.27:                               ;   in Loop: Header=BB30_6 Depth=1
	v_ashrrev_i32_e32 v13, 31, v12
	v_lshlrev_b64 v[18:19], 3, v[12:13]
	v_add_co_u32_e32 v18, vcc, v30, v18
	v_addc_co_u32_e32 v19, vcc, v31, v19, vcc
	global_load_dwordx2 v[18:19], v[18:19], off
	s_branch .LBB30_3
.LBB30_28:
	s_load_dwordx2 s[2:3], s[4:5], 0x78
	s_lshl_b64 s[0:1], s[18:19], 3
	s_waitcnt lgkmcnt(0)
	s_add_u32 s4, s10, s0
	s_addc_u32 s5, s11, s1
	v_mov_b32_e32 v11, s5
	v_mul_lo_u32 v8, v23, s2
	v_mad_u64_u32 v[8:9], s[0:1], v24, s3, v[8:9]
	v_ashrrev_i32_e32 v9, 31, v8
	v_lshlrev_b64 v[8:9], 3, v[8:9]
	v_add_co_u32_e32 v10, vcc, s4, v8
	v_addc_co_u32_e32 v11, vcc, v11, v9, vcc
	v_lshlrev_b32_e32 v8, 4, v22
	v_mbcnt_hi_u32_b32 v9, -1, v27
	v_and_b32_e32 v8, 48, v8
	v_and_b32_e32 v9, 64, v9
	v_or3_b32 v8, v8, v9, v26
	v_lshlrev_b32_e32 v12, 2, v8
	ds_bpermute_b32 v8, v12, v0
	ds_bpermute_b32 v9, v12, v1
	v_cmp_lt_i32_e32 vcc, v26, v25
	v_cmp_lt_i32_e64 s[0:1], v21, v20
	v_mul_lo_u32 v0, v26, s3
	s_and_b64 s[0:1], vcc, s[0:1]
	s_and_saveexec_b64 s[4:5], s[0:1]
	s_cbranch_execz .LBB30_30
; %bb.29:
	v_mad_u64_u32 v[14:15], s[0:1], v21, s2, v[0:1]
	v_ashrrev_i32_e32 v15, 31, v14
	v_lshlrev_b64 v[14:15], 3, v[14:15]
	v_add_co_u32_e64 v14, s[0:1], v10, v14
	v_addc_co_u32_e64 v15, s[0:1], v11, v15, s[0:1]
	global_load_dwordx2 v[16:17], v[14:15], off
	s_waitcnt vmcnt(0)
	v_mul_f64 v[16:17], v[16:17], s[14:15]
	s_waitcnt lgkmcnt(0)
	v_fmac_f64_e32 v[16:17], s[28:29], v[8:9]
	global_store_dwordx2 v[14:15], v[16:17], off
.LBB30_30:
	s_or_b64 exec, exec, s[4:5]
	ds_bpermute_b32 v2, v12, v2
	ds_bpermute_b32 v3, v12, v3
	v_or_b32_e32 v1, 4, v21
	v_cmp_lt_i32_e64 s[0:1], v1, v20
	s_and_b64 s[0:1], vcc, s[0:1]
	s_and_saveexec_b64 s[4:5], s[0:1]
	s_cbranch_execz .LBB30_32
; %bb.31:
	s_waitcnt lgkmcnt(2)
	v_mad_u64_u32 v[8:9], s[0:1], v1, s2, v[0:1]
	v_ashrrev_i32_e32 v9, 31, v8
	v_lshlrev_b64 v[8:9], 3, v[8:9]
	v_add_co_u32_e64 v8, s[0:1], v10, v8
	v_addc_co_u32_e64 v9, s[0:1], v11, v9, s[0:1]
	global_load_dwordx2 v[14:15], v[8:9], off
	s_waitcnt vmcnt(0)
	v_mul_f64 v[14:15], v[14:15], s[14:15]
	s_waitcnt lgkmcnt(0)
	v_fmac_f64_e32 v[14:15], s[28:29], v[2:3]
	global_store_dwordx2 v[8:9], v[14:15], off
.LBB30_32:
	s_or_b64 exec, exec, s[4:5]
	s_waitcnt lgkmcnt(1)
	ds_bpermute_b32 v2, v12, v4
	s_waitcnt lgkmcnt(1)
	ds_bpermute_b32 v3, v12, v5
	v_or_b32_e32 v1, 8, v21
	v_cmp_lt_i32_e64 s[0:1], v1, v20
	s_and_b64 s[0:1], vcc, s[0:1]
	s_and_saveexec_b64 s[4:5], s[0:1]
	s_cbranch_execz .LBB30_34
; %bb.33:
	v_mad_u64_u32 v[4:5], s[0:1], v1, s2, v[0:1]
	v_ashrrev_i32_e32 v5, 31, v4
	v_lshlrev_b64 v[4:5], 3, v[4:5]
	v_add_co_u32_e64 v4, s[0:1], v10, v4
	v_addc_co_u32_e64 v5, s[0:1], v11, v5, s[0:1]
	global_load_dwordx2 v[8:9], v[4:5], off
	s_waitcnt vmcnt(0)
	v_mul_f64 v[8:9], v[8:9], s[14:15]
	s_waitcnt lgkmcnt(0)
	v_fmac_f64_e32 v[8:9], s[28:29], v[2:3]
	global_store_dwordx2 v[4:5], v[8:9], off
.LBB30_34:
	s_or_b64 exec, exec, s[4:5]
	s_waitcnt lgkmcnt(1)
	ds_bpermute_b32 v2, v12, v6
	s_waitcnt lgkmcnt(1)
	ds_bpermute_b32 v3, v12, v7
	v_or_b32_e32 v1, 12, v21
	v_cmp_lt_i32_e64 s[0:1], v1, v20
	s_and_b64 s[0:1], vcc, s[0:1]
	s_and_b64 exec, exec, s[0:1]
	s_cbranch_execz .LBB30_36
; %bb.35:
	v_mad_u64_u32 v[0:1], s[0:1], v1, s2, v[0:1]
	v_ashrrev_i32_e32 v1, 31, v0
	v_lshlrev_b64 v[0:1], 3, v[0:1]
	v_add_co_u32_e32 v0, vcc, v10, v0
	v_addc_co_u32_e32 v1, vcc, v11, v1, vcc
	global_load_dwordx2 v[4:5], v[0:1], off
	s_waitcnt vmcnt(0)
	v_mul_f64 v[4:5], v[4:5], s[14:15]
	s_waitcnt lgkmcnt(0)
	v_fmac_f64_e32 v[4:5], s[28:29], v[2:3]
	global_store_dwordx2 v[0:1], v[4:5], off
.LBB30_36:
	s_endpgm
	.section	.rodata,"a",@progbits
	.p2align	6, 0x0
	.amdhsa_kernel _ZN9rocsolver6v33100L16mfma_gemm_kernelIdidPdS2_PKS2_EEv18rocblas_operation_S5_T0_S6_S6_T1_T2_lS6_S6_lT3_lS6_S6_lS7_T4_lS6_S6_l
		.amdhsa_group_segment_fixed_size 0
		.amdhsa_private_segment_fixed_size 0
		.amdhsa_kernarg_size 392
		.amdhsa_user_sgpr_count 6
		.amdhsa_user_sgpr_private_segment_buffer 1
		.amdhsa_user_sgpr_dispatch_ptr 0
		.amdhsa_user_sgpr_queue_ptr 0
		.amdhsa_user_sgpr_kernarg_segment_ptr 1
		.amdhsa_user_sgpr_dispatch_id 0
		.amdhsa_user_sgpr_flat_scratch_init 0
		.amdhsa_user_sgpr_kernarg_preload_length 0
		.amdhsa_user_sgpr_kernarg_preload_offset 0
		.amdhsa_user_sgpr_private_segment_size 0
		.amdhsa_uses_dynamic_stack 0
		.amdhsa_system_sgpr_private_segment_wavefront_offset 0
		.amdhsa_system_sgpr_workgroup_id_x 1
		.amdhsa_system_sgpr_workgroup_id_y 1
		.amdhsa_system_sgpr_workgroup_id_z 1
		.amdhsa_system_sgpr_workgroup_info 0
		.amdhsa_system_vgpr_workitem_id 1
		.amdhsa_next_free_vgpr 34
		.amdhsa_next_free_sgpr 40
		.amdhsa_accum_offset 36
		.amdhsa_reserve_vcc 1
		.amdhsa_reserve_flat_scratch 0
		.amdhsa_float_round_mode_32 0
		.amdhsa_float_round_mode_16_64 0
		.amdhsa_float_denorm_mode_32 3
		.amdhsa_float_denorm_mode_16_64 3
		.amdhsa_dx10_clamp 1
		.amdhsa_ieee_mode 1
		.amdhsa_fp16_overflow 0
		.amdhsa_tg_split 0
		.amdhsa_exception_fp_ieee_invalid_op 0
		.amdhsa_exception_fp_denorm_src 0
		.amdhsa_exception_fp_ieee_div_zero 0
		.amdhsa_exception_fp_ieee_overflow 0
		.amdhsa_exception_fp_ieee_underflow 0
		.amdhsa_exception_fp_ieee_inexact 0
		.amdhsa_exception_int_div_zero 0
	.end_amdhsa_kernel
	.section	.text._ZN9rocsolver6v33100L16mfma_gemm_kernelIdidPdS2_PKS2_EEv18rocblas_operation_S5_T0_S6_S6_T1_T2_lS6_S6_lT3_lS6_S6_lS7_T4_lS6_S6_l,"axG",@progbits,_ZN9rocsolver6v33100L16mfma_gemm_kernelIdidPdS2_PKS2_EEv18rocblas_operation_S5_T0_S6_S6_T1_T2_lS6_S6_lT3_lS6_S6_lS7_T4_lS6_S6_l,comdat
.Lfunc_end30:
	.size	_ZN9rocsolver6v33100L16mfma_gemm_kernelIdidPdS2_PKS2_EEv18rocblas_operation_S5_T0_S6_S6_T1_T2_lS6_S6_lT3_lS6_S6_lS7_T4_lS6_S6_l, .Lfunc_end30-_ZN9rocsolver6v33100L16mfma_gemm_kernelIdidPdS2_PKS2_EEv18rocblas_operation_S5_T0_S6_S6_T1_T2_lS6_S6_lT3_lS6_S6_lS7_T4_lS6_S6_l
                                        ; -- End function
	.section	.AMDGPU.csdata,"",@progbits
; Kernel info:
; codeLenInByte = 1708
; NumSgprs: 44
; NumVgprs: 34
; NumAgprs: 0
; TotalNumVgprs: 34
; ScratchSize: 0
; MemoryBound: 0
; FloatMode: 240
; IeeeMode: 1
; LDSByteSize: 0 bytes/workgroup (compile time only)
; SGPRBlocks: 5
; VGPRBlocks: 4
; NumSGPRsForWavesPerEU: 44
; NumVGPRsForWavesPerEU: 34
; AccumOffset: 36
; Occupancy: 8
; WaveLimiterHint : 1
; COMPUTE_PGM_RSRC2:SCRATCH_EN: 0
; COMPUTE_PGM_RSRC2:USER_SGPR: 6
; COMPUTE_PGM_RSRC2:TRAP_HANDLER: 0
; COMPUTE_PGM_RSRC2:TGID_X_EN: 1
; COMPUTE_PGM_RSRC2:TGID_Y_EN: 1
; COMPUTE_PGM_RSRC2:TGID_Z_EN: 1
; COMPUTE_PGM_RSRC2:TIDIG_COMP_CNT: 1
; COMPUTE_PGM_RSRC3_GFX90A:ACCUM_OFFSET: 8
; COMPUTE_PGM_RSRC3_GFX90A:TG_SPLIT: 0
	.section	.text._ZN9rocsolver6v33100L11gemm_kernelIdiPKdPdS4_PKS4_EEvT0_S7_S7_T1_bT2_lS7_S7_lbT3_lS7_S7_lS8_T4_lS7_S7_l,"axG",@progbits,_ZN9rocsolver6v33100L11gemm_kernelIdiPKdPdS4_PKS4_EEvT0_S7_S7_T1_bT2_lS7_S7_lbT3_lS7_S7_lS8_T4_lS7_S7_l,comdat
	.globl	_ZN9rocsolver6v33100L11gemm_kernelIdiPKdPdS4_PKS4_EEvT0_S7_S7_T1_bT2_lS7_S7_lbT3_lS7_S7_lS8_T4_lS7_S7_l ; -- Begin function _ZN9rocsolver6v33100L11gemm_kernelIdiPKdPdS4_PKS4_EEvT0_S7_S7_T1_bT2_lS7_S7_lbT3_lS7_S7_lS8_T4_lS7_S7_l
	.p2align	8
	.type	_ZN9rocsolver6v33100L11gemm_kernelIdiPKdPdS4_PKS4_EEvT0_S7_S7_T1_bT2_lS7_S7_lbT3_lS7_S7_lS8_T4_lS7_S7_l,@function
_ZN9rocsolver6v33100L11gemm_kernelIdiPKdPdS4_PKS4_EEvT0_S7_S7_T1_bT2_lS7_S7_lbT3_lS7_S7_lS8_T4_lS7_S7_l: ; @_ZN9rocsolver6v33100L11gemm_kernelIdiPKdPdS4_PKS4_EEvT0_S7_S7_T1_bT2_lS7_S7_lbT3_lS7_S7_lS8_T4_lS7_S7_l
; %bb.0:
	s_load_dword s9, s[4:5], 0x9c
	s_load_dwordx4 s[0:3], s[4:5], 0x0
	v_and_b32_e32 v1, 0x3ff, v0
	v_bfe_u32 v0, v0, 10, 10
	s_waitcnt lgkmcnt(0)
	s_and_b32 s3, s9, 0xffff
	s_lshr_b32 s9, s9, 16
	s_mul_i32 s7, s7, s9
	s_mul_i32 s6, s6, s3
	v_add_u32_e32 v6, s6, v1
	v_add_u32_e32 v7, s7, v0
	v_cmp_gt_i32_e32 vcc, s0, v6
	v_cmp_gt_i32_e64 s[0:1], s1, v7
	s_and_b64 s[0:1], vcc, s[0:1]
	s_and_saveexec_b64 s[6:7], s[0:1]
	s_cbranch_execz .LBB31_6
; %bb.1:
	s_load_dwordx8 s[12:19], s[4:5], 0x60
	s_load_dwordx2 s[0:1], s[4:5], 0x10
	s_ashr_i32 s9, s8, 31
	s_lshl_b64 s[6:7], s[8:9], 3
	s_waitcnt lgkmcnt(0)
	s_add_u32 s6, s16, s6
	s_addc_u32 s7, s17, s7
	s_load_dwordx2 s[6:7], s[6:7], 0x0
	s_cmp_lt_i32 s2, 1
	s_cbranch_scc1 .LBB31_4
; %bb.2:
	s_load_dwordx8 s[20:27], s[4:5], 0x20
	s_load_dwordx2 s[10:11], s[4:5], 0x58
	s_load_dwordx4 s[28:31], s[4:5], 0x48
	s_mul_i32 s3, s12, s9
	s_waitcnt lgkmcnt(0)
	v_mul_lo_u32 v0, v6, s24
	v_mul_lo_u32 v2, v7, s11
	s_mul_hi_u32 s11, s12, s8
	s_add_i32 s3, s11, s3
	s_mul_i32 s11, s13, s8
	s_add_i32 s13, s3, s11
	s_mul_i32 s12, s12, s8
	s_lshl_b64 s[12:13], s[12:13], 3
	s_lshl_b64 s[16:17], s[30:31], 3
	s_add_u32 s3, s12, s16
	s_addc_u32 s11, s13, s17
	v_ashrrev_i32_e32 v3, 31, v2
	v_lshlrev_b64 v[2:3], 3, v[2:3]
	s_add_u32 s3, s28, s3
	v_add_co_u32_e32 v2, vcc, s3, v2
	s_mul_i32 s3, s26, s9
	s_mul_hi_u32 s9, s26, s8
	s_addc_u32 s11, s29, s11
	s_add_i32 s3, s9, s3
	s_mul_i32 s9, s27, s8
	v_mov_b32_e32 v1, s11
	s_ashr_i32 s11, s10, 31
	s_add_i32 s9, s3, s9
	s_mul_i32 s8, s26, s8
	s_lshl_b64 s[10:11], s[10:11], 3
	s_lshl_b64 s[8:9], s[8:9], 3
	;; [unrolled: 1-line block ×3, first 2 shown]
	s_add_u32 s3, s8, s12
	s_addc_u32 s8, s9, s13
	s_add_u32 s3, s20, s3
	v_addc_co_u32_e32 v3, vcc, v1, v3, vcc
	v_ashrrev_i32_e32 v1, 31, v0
	s_addc_u32 s8, s21, s8
	v_lshlrev_b64 v[0:1], 3, v[0:1]
	v_mov_b32_e32 v5, s8
	s_ashr_i32 s9, s25, 31
	s_mov_b32 s8, s25
	v_add_co_u32_e32 v4, vcc, s3, v0
	s_lshl_b64 s[8:9], s[8:9], 3
	v_addc_co_u32_e32 v5, vcc, v5, v1, vcc
	v_pk_mov_b32 v[0:1], 0, 0
	v_mov_b32_e32 v8, s11
	v_mov_b32_e32 v9, s9
.LBB31_3:                               ; =>This Inner Loop Header: Depth=1
	global_load_dwordx2 v[10:11], v[4:5], off
	global_load_dwordx2 v[12:13], v[2:3], off
	v_add_co_u32_e32 v2, vcc, s10, v2
	v_addc_co_u32_e32 v3, vcc, v3, v8, vcc
	v_add_co_u32_e32 v4, vcc, s8, v4
	s_add_i32 s2, s2, -1
	v_addc_co_u32_e32 v5, vcc, v5, v9, vcc
	s_cmp_eq_u32 s2, 0
	s_waitcnt vmcnt(0)
	v_fmac_f64_e32 v[0:1], v[10:11], v[12:13]
	s_cbranch_scc0 .LBB31_3
	s_branch .LBB31_5
.LBB31_4:
	v_pk_mov_b32 v[0:1], 0, 0
.LBB31_5:
	s_load_dwordx2 s[2:3], s[0:1], 0x0
	s_load_dwordx2 s[8:9], s[14:15], 0x0
                                        ; kill: killed $sgpr0_sgpr1
                                        ; kill: killed $sgpr14_sgpr15
	s_nop 0
	s_load_dwordx2 s[0:1], s[4:5], 0x80
	s_lshl_b64 s[4:5], s[18:19], 3
	s_waitcnt lgkmcnt(0)
	s_add_u32 s4, s6, s4
	s_addc_u32 s5, s7, s5
	v_mov_b32_e32 v4, s5
	v_mul_lo_u32 v2, v6, s0
	v_mad_u64_u32 v[2:3], s[0:1], v7, s1, v[2:3]
	v_ashrrev_i32_e32 v3, 31, v2
	v_lshlrev_b64 v[2:3], 3, v[2:3]
	v_add_co_u32_e32 v2, vcc, s4, v2
	v_addc_co_u32_e32 v3, vcc, v4, v3, vcc
	global_load_dwordx2 v[4:5], v[2:3], off
	s_waitcnt vmcnt(0)
	v_mul_f64 v[4:5], s[8:9], v[4:5]
	v_fmac_f64_e32 v[4:5], s[2:3], v[0:1]
	global_store_dwordx2 v[2:3], v[4:5], off
.LBB31_6:
	s_endpgm
	.section	.rodata,"a",@progbits
	.p2align	6, 0x0
	.amdhsa_kernel _ZN9rocsolver6v33100L11gemm_kernelIdiPKdPdS4_PKS4_EEvT0_S7_S7_T1_bT2_lS7_S7_lbT3_lS7_S7_lS8_T4_lS7_S7_l
		.amdhsa_group_segment_fixed_size 0
		.amdhsa_private_segment_fixed_size 0
		.amdhsa_kernarg_size 400
		.amdhsa_user_sgpr_count 6
		.amdhsa_user_sgpr_private_segment_buffer 1
		.amdhsa_user_sgpr_dispatch_ptr 0
		.amdhsa_user_sgpr_queue_ptr 0
		.amdhsa_user_sgpr_kernarg_segment_ptr 1
		.amdhsa_user_sgpr_dispatch_id 0
		.amdhsa_user_sgpr_flat_scratch_init 0
		.amdhsa_user_sgpr_kernarg_preload_length 0
		.amdhsa_user_sgpr_kernarg_preload_offset 0
		.amdhsa_user_sgpr_private_segment_size 0
		.amdhsa_uses_dynamic_stack 0
		.amdhsa_system_sgpr_private_segment_wavefront_offset 0
		.amdhsa_system_sgpr_workgroup_id_x 1
		.amdhsa_system_sgpr_workgroup_id_y 1
		.amdhsa_system_sgpr_workgroup_id_z 1
		.amdhsa_system_sgpr_workgroup_info 0
		.amdhsa_system_vgpr_workitem_id 1
		.amdhsa_next_free_vgpr 14
		.amdhsa_next_free_sgpr 32
		.amdhsa_accum_offset 16
		.amdhsa_reserve_vcc 1
		.amdhsa_reserve_flat_scratch 0
		.amdhsa_float_round_mode_32 0
		.amdhsa_float_round_mode_16_64 0
		.amdhsa_float_denorm_mode_32 3
		.amdhsa_float_denorm_mode_16_64 3
		.amdhsa_dx10_clamp 1
		.amdhsa_ieee_mode 1
		.amdhsa_fp16_overflow 0
		.amdhsa_tg_split 0
		.amdhsa_exception_fp_ieee_invalid_op 0
		.amdhsa_exception_fp_denorm_src 0
		.amdhsa_exception_fp_ieee_div_zero 0
		.amdhsa_exception_fp_ieee_overflow 0
		.amdhsa_exception_fp_ieee_underflow 0
		.amdhsa_exception_fp_ieee_inexact 0
		.amdhsa_exception_int_div_zero 0
	.end_amdhsa_kernel
	.section	.text._ZN9rocsolver6v33100L11gemm_kernelIdiPKdPdS4_PKS4_EEvT0_S7_S7_T1_bT2_lS7_S7_lbT3_lS7_S7_lS8_T4_lS7_S7_l,"axG",@progbits,_ZN9rocsolver6v33100L11gemm_kernelIdiPKdPdS4_PKS4_EEvT0_S7_S7_T1_bT2_lS7_S7_lbT3_lS7_S7_lS8_T4_lS7_S7_l,comdat
.Lfunc_end31:
	.size	_ZN9rocsolver6v33100L11gemm_kernelIdiPKdPdS4_PKS4_EEvT0_S7_S7_T1_bT2_lS7_S7_lbT3_lS7_S7_lS8_T4_lS7_S7_l, .Lfunc_end31-_ZN9rocsolver6v33100L11gemm_kernelIdiPKdPdS4_PKS4_EEvT0_S7_S7_T1_bT2_lS7_S7_lbT3_lS7_S7_lS8_T4_lS7_S7_l
                                        ; -- End function
	.section	.AMDGPU.csdata,"",@progbits
; Kernel info:
; codeLenInByte = 548
; NumSgprs: 36
; NumVgprs: 14
; NumAgprs: 0
; TotalNumVgprs: 14
; ScratchSize: 0
; MemoryBound: 0
; FloatMode: 240
; IeeeMode: 1
; LDSByteSize: 0 bytes/workgroup (compile time only)
; SGPRBlocks: 4
; VGPRBlocks: 1
; NumSGPRsForWavesPerEU: 36
; NumVGPRsForWavesPerEU: 14
; AccumOffset: 16
; Occupancy: 8
; WaveLimiterHint : 1
; COMPUTE_PGM_RSRC2:SCRATCH_EN: 0
; COMPUTE_PGM_RSRC2:USER_SGPR: 6
; COMPUTE_PGM_RSRC2:TRAP_HANDLER: 0
; COMPUTE_PGM_RSRC2:TGID_X_EN: 1
; COMPUTE_PGM_RSRC2:TGID_Y_EN: 1
; COMPUTE_PGM_RSRC2:TGID_Z_EN: 1
; COMPUTE_PGM_RSRC2:TIDIG_COMP_CNT: 1
; COMPUTE_PGM_RSRC3_GFX90A:ACCUM_OFFSET: 3
; COMPUTE_PGM_RSRC3_GFX90A:TG_SPLIT: 0
	.section	.text._ZN9rocsolver6v33100L11gemm_kernelIdidPdS2_PKS2_EEvT0_S5_S5_T1_bT2_lS5_S5_lbT3_lS5_S5_lS6_T4_lS5_S5_l,"axG",@progbits,_ZN9rocsolver6v33100L11gemm_kernelIdidPdS2_PKS2_EEvT0_S5_S5_T1_bT2_lS5_S5_lbT3_lS5_S5_lS6_T4_lS5_S5_l,comdat
	.globl	_ZN9rocsolver6v33100L11gemm_kernelIdidPdS2_PKS2_EEvT0_S5_S5_T1_bT2_lS5_S5_lbT3_lS5_S5_lS6_T4_lS5_S5_l ; -- Begin function _ZN9rocsolver6v33100L11gemm_kernelIdidPdS2_PKS2_EEvT0_S5_S5_T1_bT2_lS5_S5_lbT3_lS5_S5_lS6_T4_lS5_S5_l
	.p2align	8
	.type	_ZN9rocsolver6v33100L11gemm_kernelIdidPdS2_PKS2_EEvT0_S5_S5_T1_bT2_lS5_S5_lbT3_lS5_S5_lS6_T4_lS5_S5_l,@function
_ZN9rocsolver6v33100L11gemm_kernelIdidPdS2_PKS2_EEvT0_S5_S5_T1_bT2_lS5_S5_lbT3_lS5_S5_lS6_T4_lS5_S5_l: ; @_ZN9rocsolver6v33100L11gemm_kernelIdidPdS2_PKS2_EEvT0_S5_S5_T1_bT2_lS5_S5_lbT3_lS5_S5_lS6_T4_lS5_S5_l
; %bb.0:
	s_load_dword s9, s[4:5], 0x9c
	s_load_dwordx4 s[0:3], s[4:5], 0x0
	v_and_b32_e32 v1, 0x3ff, v0
	v_bfe_u32 v0, v0, 10, 10
	s_waitcnt lgkmcnt(0)
	s_and_b32 s3, s9, 0xffff
	s_lshr_b32 s9, s9, 16
	s_mul_i32 s7, s7, s9
	s_mul_i32 s6, s6, s3
	v_add_u32_e32 v6, s6, v1
	v_add_u32_e32 v7, s7, v0
	v_cmp_gt_i32_e32 vcc, s0, v6
	v_cmp_gt_i32_e64 s[0:1], s1, v7
	s_and_b64 s[0:1], vcc, s[0:1]
	s_and_saveexec_b64 s[6:7], s[0:1]
	s_cbranch_execz .LBB32_6
; %bb.1:
	s_load_dwordx8 s[12:19], s[4:5], 0x60
	s_ashr_i32 s9, s8, 31
	s_lshl_b64 s[0:1], s[8:9], 3
	s_waitcnt lgkmcnt(0)
	s_add_u32 s0, s16, s0
	s_addc_u32 s1, s17, s1
	s_load_dwordx2 s[0:1], s[0:1], 0x0
	s_cmp_lt_i32 s2, 1
	s_cbranch_scc1 .LBB32_4
; %bb.2:
	s_load_dwordx8 s[20:27], s[4:5], 0x20
	s_load_dwordx2 s[6:7], s[4:5], 0x58
	s_load_dwordx4 s[28:31], s[4:5], 0x48
	s_mul_i32 s3, s12, s9
	s_mul_i32 s10, s12, s8
	s_waitcnt lgkmcnt(0)
	v_mul_lo_u32 v0, v6, s24
	v_mul_lo_u32 v2, v7, s7
	s_mul_hi_u32 s7, s12, s8
	s_add_i32 s3, s7, s3
	s_mul_i32 s7, s13, s8
	s_add_i32 s11, s3, s7
	s_lshl_b64 s[10:11], s[10:11], 3
	s_lshl_b64 s[12:13], s[30:31], 3
	s_add_u32 s3, s10, s12
	s_addc_u32 s7, s11, s13
	v_ashrrev_i32_e32 v3, 31, v2
	v_lshlrev_b64 v[2:3], 3, v[2:3]
	s_add_u32 s3, s28, s3
	v_add_co_u32_e32 v2, vcc, s3, v2
	s_mul_i32 s3, s26, s9
	s_mul_hi_u32 s9, s26, s8
	s_addc_u32 s7, s29, s7
	s_add_i32 s3, s9, s3
	s_mul_i32 s9, s27, s8
	v_mov_b32_e32 v1, s7
	s_ashr_i32 s7, s6, 31
	s_add_i32 s9, s3, s9
	s_mul_i32 s8, s26, s8
	s_lshl_b64 s[6:7], s[6:7], 3
	s_lshl_b64 s[8:9], s[8:9], 3
	;; [unrolled: 1-line block ×3, first 2 shown]
	s_add_u32 s3, s8, s10
	s_addc_u32 s8, s9, s11
	s_add_u32 s3, s20, s3
	v_addc_co_u32_e32 v3, vcc, v1, v3, vcc
	v_ashrrev_i32_e32 v1, 31, v0
	s_addc_u32 s8, s21, s8
	v_lshlrev_b64 v[0:1], 3, v[0:1]
	v_mov_b32_e32 v5, s8
	s_ashr_i32 s9, s25, 31
	s_mov_b32 s8, s25
	v_add_co_u32_e32 v4, vcc, s3, v0
	s_lshl_b64 s[8:9], s[8:9], 3
	v_addc_co_u32_e32 v5, vcc, v5, v1, vcc
	v_pk_mov_b32 v[0:1], 0, 0
	v_mov_b32_e32 v8, s7
	v_mov_b32_e32 v9, s9
.LBB32_3:                               ; =>This Inner Loop Header: Depth=1
	global_load_dwordx2 v[10:11], v[4:5], off
	global_load_dwordx2 v[12:13], v[2:3], off
	v_add_co_u32_e32 v2, vcc, s6, v2
	v_addc_co_u32_e32 v3, vcc, v3, v8, vcc
	v_add_co_u32_e32 v4, vcc, s8, v4
	s_add_i32 s2, s2, -1
	v_addc_co_u32_e32 v5, vcc, v5, v9, vcc
	s_cmp_eq_u32 s2, 0
	s_waitcnt vmcnt(0)
	v_fmac_f64_e32 v[0:1], v[10:11], v[12:13]
	s_cbranch_scc0 .LBB32_3
	s_branch .LBB32_5
.LBB32_4:
	v_pk_mov_b32 v[0:1], 0, 0
.LBB32_5:
	s_load_dwordx2 s[2:3], s[4:5], 0x80
	s_lshl_b64 s[6:7], s[18:19], 3
	s_waitcnt lgkmcnt(0)
	s_add_u32 s6, s0, s6
	s_addc_u32 s7, s1, s7
	v_mov_b32_e32 v4, s7
	v_mul_lo_u32 v2, v6, s2
	v_mad_u64_u32 v[2:3], s[0:1], v7, s3, v[2:3]
	v_ashrrev_i32_e32 v3, 31, v2
	v_lshlrev_b64 v[2:3], 3, v[2:3]
	v_add_co_u32_e32 v2, vcc, s6, v2
	v_addc_co_u32_e32 v3, vcc, v4, v3, vcc
	global_load_dwordx2 v[4:5], v[2:3], off
	s_load_dwordx2 s[0:1], s[4:5], 0x10
	s_waitcnt vmcnt(0)
	v_mul_f64 v[4:5], v[4:5], s[14:15]
	s_waitcnt lgkmcnt(0)
	v_fmac_f64_e32 v[4:5], s[0:1], v[0:1]
	global_store_dwordx2 v[2:3], v[4:5], off
.LBB32_6:
	s_endpgm
	.section	.rodata,"a",@progbits
	.p2align	6, 0x0
	.amdhsa_kernel _ZN9rocsolver6v33100L11gemm_kernelIdidPdS2_PKS2_EEvT0_S5_S5_T1_bT2_lS5_S5_lbT3_lS5_S5_lS6_T4_lS5_S5_l
		.amdhsa_group_segment_fixed_size 0
		.amdhsa_private_segment_fixed_size 0
		.amdhsa_kernarg_size 400
		.amdhsa_user_sgpr_count 6
		.amdhsa_user_sgpr_private_segment_buffer 1
		.amdhsa_user_sgpr_dispatch_ptr 0
		.amdhsa_user_sgpr_queue_ptr 0
		.amdhsa_user_sgpr_kernarg_segment_ptr 1
		.amdhsa_user_sgpr_dispatch_id 0
		.amdhsa_user_sgpr_flat_scratch_init 0
		.amdhsa_user_sgpr_kernarg_preload_length 0
		.amdhsa_user_sgpr_kernarg_preload_offset 0
		.amdhsa_user_sgpr_private_segment_size 0
		.amdhsa_uses_dynamic_stack 0
		.amdhsa_system_sgpr_private_segment_wavefront_offset 0
		.amdhsa_system_sgpr_workgroup_id_x 1
		.amdhsa_system_sgpr_workgroup_id_y 1
		.amdhsa_system_sgpr_workgroup_id_z 1
		.amdhsa_system_sgpr_workgroup_info 0
		.amdhsa_system_vgpr_workitem_id 1
		.amdhsa_next_free_vgpr 14
		.amdhsa_next_free_sgpr 32
		.amdhsa_accum_offset 16
		.amdhsa_reserve_vcc 1
		.amdhsa_reserve_flat_scratch 0
		.amdhsa_float_round_mode_32 0
		.amdhsa_float_round_mode_16_64 0
		.amdhsa_float_denorm_mode_32 3
		.amdhsa_float_denorm_mode_16_64 3
		.amdhsa_dx10_clamp 1
		.amdhsa_ieee_mode 1
		.amdhsa_fp16_overflow 0
		.amdhsa_tg_split 0
		.amdhsa_exception_fp_ieee_invalid_op 0
		.amdhsa_exception_fp_denorm_src 0
		.amdhsa_exception_fp_ieee_div_zero 0
		.amdhsa_exception_fp_ieee_overflow 0
		.amdhsa_exception_fp_ieee_underflow 0
		.amdhsa_exception_fp_ieee_inexact 0
		.amdhsa_exception_int_div_zero 0
	.end_amdhsa_kernel
	.section	.text._ZN9rocsolver6v33100L11gemm_kernelIdidPdS2_PKS2_EEvT0_S5_S5_T1_bT2_lS5_S5_lbT3_lS5_S5_lS6_T4_lS5_S5_l,"axG",@progbits,_ZN9rocsolver6v33100L11gemm_kernelIdidPdS2_PKS2_EEvT0_S5_S5_T1_bT2_lS5_S5_lbT3_lS5_S5_lS6_T4_lS5_S5_l,comdat
.Lfunc_end32:
	.size	_ZN9rocsolver6v33100L11gemm_kernelIdidPdS2_PKS2_EEvT0_S5_S5_T1_bT2_lS5_S5_lbT3_lS5_S5_lS6_T4_lS5_S5_l, .Lfunc_end32-_ZN9rocsolver6v33100L11gemm_kernelIdidPdS2_PKS2_EEvT0_S5_S5_T1_bT2_lS5_S5_lbT3_lS5_S5_lS6_T4_lS5_S5_l
                                        ; -- End function
	.section	.AMDGPU.csdata,"",@progbits
; Kernel info:
; codeLenInByte = 532
; NumSgprs: 36
; NumVgprs: 14
; NumAgprs: 0
; TotalNumVgprs: 14
; ScratchSize: 0
; MemoryBound: 0
; FloatMode: 240
; IeeeMode: 1
; LDSByteSize: 0 bytes/workgroup (compile time only)
; SGPRBlocks: 4
; VGPRBlocks: 1
; NumSGPRsForWavesPerEU: 36
; NumVGPRsForWavesPerEU: 14
; AccumOffset: 16
; Occupancy: 8
; WaveLimiterHint : 1
; COMPUTE_PGM_RSRC2:SCRATCH_EN: 0
; COMPUTE_PGM_RSRC2:USER_SGPR: 6
; COMPUTE_PGM_RSRC2:TRAP_HANDLER: 0
; COMPUTE_PGM_RSRC2:TGID_X_EN: 1
; COMPUTE_PGM_RSRC2:TGID_Y_EN: 1
; COMPUTE_PGM_RSRC2:TGID_Z_EN: 1
; COMPUTE_PGM_RSRC2:TIDIG_COMP_CNT: 1
; COMPUTE_PGM_RSRC3_GFX90A:ACCUM_OFFSET: 3
; COMPUTE_PGM_RSRC3_GFX90A:TG_SPLIT: 0
	.section	.text._ZN9rocsolver6v33100L16mfma_gemm_kernelIdlPKdPdS4_S4_EEv18rocblas_operation_S5_T0_S6_S6_T1_T2_lS6_S6_lT3_lS6_S6_lS7_T4_lS6_S6_l,"axG",@progbits,_ZN9rocsolver6v33100L16mfma_gemm_kernelIdlPKdPdS4_S4_EEv18rocblas_operation_S5_T0_S6_S6_T1_T2_lS6_S6_lT3_lS6_S6_lS7_T4_lS6_S6_l,comdat
	.globl	_ZN9rocsolver6v33100L16mfma_gemm_kernelIdlPKdPdS4_S4_EEv18rocblas_operation_S5_T0_S6_S6_T1_T2_lS6_S6_lT3_lS6_S6_lS7_T4_lS6_S6_l ; -- Begin function _ZN9rocsolver6v33100L16mfma_gemm_kernelIdlPKdPdS4_S4_EEv18rocblas_operation_S5_T0_S6_S6_T1_T2_lS6_S6_lT3_lS6_S6_lS7_T4_lS6_S6_l
	.p2align	8
	.type	_ZN9rocsolver6v33100L16mfma_gemm_kernelIdlPKdPdS4_S4_EEv18rocblas_operation_S5_T0_S6_S6_T1_T2_lS6_S6_lT3_lS6_S6_lS7_T4_lS6_S6_l,@function
_ZN9rocsolver6v33100L16mfma_gemm_kernelIdlPKdPdS4_S4_EEv18rocblas_operation_S5_T0_S6_S6_T1_T2_lS6_S6_lT3_lS6_S6_lS7_T4_lS6_S6_l: ; @_ZN9rocsolver6v33100L16mfma_gemm_kernelIdlPKdPdS4_S4_EEv18rocblas_operation_S5_T0_S6_S6_T1_T2_lS6_S6_lT3_lS6_S6_lS7_T4_lS6_S6_l
; %bb.0:
	s_load_dword s0, s[4:5], 0xb4
	s_load_dwordx16 s[36:51], s[4:5], 0x8
	v_and_b32_e32 v1, 0x3ff, v0
	v_lshrrev_b32_e32 v8, 6, v1
	v_mov_b32_e32 v9, 0
	s_waitcnt lgkmcnt(0)
	s_lshr_b32 s2, s0, 16
	s_bfe_u32 s0, s0, 0xa0006
	v_bfe_u32 v2, v0, 10, 10
	v_mov_b32_e32 v0, s6
	v_mov_b32_e32 v3, v9
	v_mad_u64_u32 v[22:23], s[0:1], s0, v0, v[8:9]
	v_mov_b32_e32 v0, s7
	v_mad_u64_u32 v[26:27], s[0:1], s2, v0, v[2:3]
	v_lshlrev_b64 v[12:13], 4, v[22:23]
	v_lshlrev_b64 v[14:15], 4, v[26:27]
	v_cmp_gt_i64_e32 vcc, s[36:37], v[12:13]
	v_cmp_gt_i64_e64 s[0:1], s[38:39], v[14:15]
	s_and_b64 s[0:1], vcc, s[0:1]
	s_and_saveexec_b64 s[2:3], s[0:1]
	s_cbranch_execz .LBB33_36
; %bb.1:
	s_load_dwordx16 s[12:27], s[4:5], 0x48
	v_add_co_u32_e32 v2, vcc, 16, v12
	v_addc_co_u32_e32 v3, vcc, 0, v13, vcc
	s_and_b32 s0, s36, 15
	v_mov_b32_e32 v0, s0
	v_cmp_lt_u64_e32 vcc, s[36:37], v[2:3]
	v_cndmask_b32_e32 v8, 16, v0, vcc
	v_add_co_u32_e32 v2, vcc, 16, v14
	s_load_dwordx2 s[28:29], s[42:43], 0x0
	s_waitcnt lgkmcnt(0)
	s_load_dwordx2 s[30:31], s[24:25], 0x0
	v_addc_co_u32_e32 v3, vcc, 0, v15, vcc
	s_and_b32 s0, s38, 15
	v_mov_b32_e32 v0, s0
	v_cmp_lt_u64_e32 vcc, s[38:39], v[2:3]
	v_cndmask_b32_e32 v16, 16, v0, vcc
	v_mov_b32_e32 v17, v9
	v_bfe_u32 v18, v1, 2, 4
	v_mov_b32_e32 v19, v9
	v_cmp_lt_i64_e64 s[0:1], s[40:41], 1
	v_pk_mov_b32 v[6:7], 0, 0
	v_and_b32_e32 v25, 63, v1
	v_and_b32_e32 v10, 3, v1
	v_mov_b32_e32 v11, v9
	s_and_b64 vcc, exec, s[0:1]
	v_cmp_lt_u64_e64 s[0:1], v[18:19], v[16:17]
	v_mbcnt_lo_u32_b32 v34, -1, 0
	v_pk_mov_b32 v[4:5], v[6:7], v[6:7] op_sel:[0,1]
	v_pk_mov_b32 v[2:3], v[6:7], v[6:7] op_sel:[0,1]
	;; [unrolled: 1-line block ×3, first 2 shown]
	s_cbranch_vccnz .LBB33_28
; %bb.2:
	s_load_dwordx2 s[2:3], s[4:5], 0x0
	v_mov_b32_e32 v1, 0
	v_and_b32_e32 v0, 15, v25
	v_lshrrev_b32_e32 v20, 4, v25
	v_cmp_lt_u64_e64 s[6:7], v[0:1], v[8:9]
	s_waitcnt lgkmcnt(0)
	s_cmpk_lg_i32 s2, 0x6f
	s_cselect_b64 s[24:25], -1, 0
	s_cmpk_lg_i32 s3, 0x6f
	s_cselect_b64 s[34:35], -1, 0
	s_cmpk_eq_i32 s3, 0x6f
	s_cselect_b32 s9, s20, s18
	s_cselect_b32 s33, s21, s19
	s_cmpk_eq_i32 s2, 0x6f
	s_cselect_b32 s38, s48, s50
	s_cselect_b32 s39, s49, s51
	v_cmp_lt_u64_e64 s[10:11], v[0:1], v[16:17]
	v_mul_lo_u32 v1, s39, v22
	v_mul_lo_u32 v4, s38, v23
	v_mad_u64_u32 v[2:3], s[38:39], s38, v22, 0
	v_add3_u32 v3, v3, v4, v1
	v_mad_u64_u32 v[4:5], s[38:39], s50, v20, 0
	v_mov_b32_e32 v6, v5
	v_mad_u64_u32 v[6:7], s[38:39], s51, v20, v[6:7]
	v_mov_b32_e32 v5, v6
	v_lshlrev_b64 v[2:3], 7, v[2:3]
	v_lshlrev_b64 v[4:5], 3, v[4:5]
	s_mul_i32 s13, s13, s8
	s_mul_hi_u32 s38, s12, s8
	v_add_co_u32_e32 v1, vcc, v2, v4
	s_add_i32 s13, s38, s13
	s_mul_i32 s12, s12, s8
	v_addc_co_u32_e32 v4, vcc, v3, v5, vcc
	s_lshl_b64 s[38:39], s[12:13], 3
	v_mov_b32_e32 v23, s39
	v_add_co_u32_e32 v1, vcc, s38, v1
	v_addc_co_u32_e32 v21, vcc, v4, v23, vcc
	v_mad_u64_u32 v[4:5], s[12:13], s48, v0, 0
	v_mov_b32_e32 v6, v5
	v_mad_u64_u32 v[6:7], s[12:13], s49, v0, v[6:7]
	v_mov_b32_e32 v5, v6
	v_lshlrev_b64 v[4:5], 3, v[4:5]
	v_add_co_u32_e32 v1, vcc, v1, v4
	v_addc_co_u32_e32 v4, vcc, v21, v5, vcc
	v_mov_b32_e32 v5, s45
	v_add_co_u32_e32 v22, vcc, s44, v1
	v_addc_co_u32_e32 v21, vcc, v5, v4, vcc
	v_mad_u64_u32 v[4:5], s[42:43], s50, v18, 0
	v_mov_b32_e32 v6, v5
	v_mad_u64_u32 v[6:7], s[42:43], s51, v18, v[6:7]
	v_mov_b32_e32 v5, v6
	v_lshlrev_b64 v[4:5], 3, v[4:5]
	v_add_co_u32_e32 v1, vcc, v2, v4
	v_addc_co_u32_e32 v2, vcc, v3, v5, vcc
	v_add_co_u32_e32 v1, vcc, s38, v1
	v_addc_co_u32_e32 v6, vcc, v2, v23, vcc
	v_mad_u64_u32 v[2:3], s[38:39], s48, v10, 0
	v_mov_b32_e32 v4, v3
	v_mad_u64_u32 v[4:5], s[38:39], s49, v10, v[4:5]
	v_mov_b32_e32 v3, v4
	v_lshlrev_b64 v[2:3], 3, v[2:3]
	v_add_co_u32_e32 v1, vcc, v1, v2
	v_addc_co_u32_e32 v2, vcc, v6, v3, vcc
	v_mov_b32_e32 v3, s45
	v_add_co_u32_e32 v24, vcc, s44, v1
	v_addc_co_u32_e32 v23, vcc, v3, v2, vcc
	v_mul_lo_u32 v1, s33, v26
	v_mul_lo_u32 v4, s9, v27
	v_mad_u64_u32 v[2:3], s[42:43], s9, v26, 0
	v_add3_u32 v3, v3, v4, v1
	v_mad_u64_u32 v[4:5], s[42:43], s20, v18, 0
	v_mov_b32_e32 v6, v5
	v_mad_u64_u32 v[6:7], s[42:43], s21, v18, v[6:7]
	v_mov_b32_e32 v5, v6
	v_lshlrev_b64 v[2:3], 7, v[2:3]
	v_lshlrev_b64 v[4:5], 3, v[4:5]
	s_mul_i32 s9, s23, s8
	s_mul_hi_u32 s23, s22, s8
	v_add_co_u32_e32 v1, vcc, v2, v4
	s_add_i32 s23, s23, s9
	s_mul_i32 s22, s22, s8
	v_addc_co_u32_e32 v4, vcc, v3, v5, vcc
	s_lshl_b64 s[22:23], s[22:23], 3
	v_mov_b32_e32 v28, s23
	v_add_co_u32_e32 v1, vcc, s22, v1
	v_addc_co_u32_e32 v26, vcc, v4, v28, vcc
	v_mad_u64_u32 v[4:5], s[42:43], s18, v10, 0
	v_mov_b32_e32 v6, v5
	v_mad_u64_u32 v[6:7], s[42:43], s19, v10, v[6:7]
	v_mov_b32_e32 v5, v6
	s_lshl_b64 s[36:37], s[46:47], 3
	s_lshl_b64 s[12:13], s[50:51], 5
	;; [unrolled: 1-line block ×3, first 2 shown]
	v_lshlrev_b64 v[4:5], 3, v[4:5]
	s_lshl_b64 s[16:17], s[16:17], 3
	v_add_co_u32_e32 v1, vcc, v1, v4
	s_add_u32 s9, s14, s16
	v_addc_co_u32_e32 v4, vcc, v26, v5, vcc
	s_addc_u32 s23, s15, s17
	v_mov_b32_e32 v5, s23
	v_add_co_u32_e32 v26, vcc, s9, v1
	v_addc_co_u32_e32 v27, vcc, v5, v4, vcc
	v_mad_u64_u32 v[4:5], s[16:17], s20, v20, 0
	v_mov_b32_e32 v6, v5
	v_mad_u64_u32 v[6:7], s[16:17], s21, v20, v[6:7]
	v_mov_b32_e32 v5, v6
	v_lshlrev_b64 v[4:5], 3, v[4:5]
	v_add_co_u32_e32 v1, vcc, v2, v4
	v_addc_co_u32_e32 v2, vcc, v3, v5, vcc
	v_add_co_u32_e32 v5, vcc, s22, v1
	v_addc_co_u32_e32 v6, vcc, v2, v28, vcc
	v_mad_u64_u32 v[2:3], s[16:17], s18, v0, 0
	v_mov_b32_e32 v4, v3
	v_lshl_or_b32 v30, v0, 2, v20
	v_mad_u64_u32 v[0:1], s[16:17], s19, v0, v[4:5]
	v_mov_b32_e32 v3, v0
	v_lshlrev_b64 v[0:1], 3, v[2:3]
	v_add_co_u32_e32 v0, vcc, v5, v0
	v_addc_co_u32_e32 v1, vcc, v6, v1, vcc
	v_mov_b32_e32 v2, s23
	v_add_co_u32_e32 v28, vcc, s9, v0
	v_addc_co_u32_e32 v29, vcc, v2, v1, vcc
	v_mbcnt_hi_u32_b32 v2, -1, v34
	v_pk_mov_b32 v[0:1], 0, 0
	v_and_or_b32 v2, v2, 64, v30
	v_cmp_lt_u64_e64 s[2:3], v[18:19], v[8:9]
	s_lshl_b64 s[14:15], s[18:19], 5
	s_lshl_b64 s[16:17], s[20:21], 5
	s_mov_b64 s[18:19], 0
	v_lshlrev_b32_e32 v35, 2, v2
	v_pk_mov_b32 v[2:3], v[0:1], v[0:1] op_sel:[0,1]
	v_pk_mov_b32 v[4:5], v[0:1], v[0:1] op_sel:[0,1]
	;; [unrolled: 1-line block ×3, first 2 shown]
	s_branch .LBB33_6
.LBB33_3:                               ;   in Loop: Header=BB33_6 Depth=1
	s_or_b64 exec, exec, s[22:23]
.LBB33_4:                               ;   in Loop: Header=BB33_6 Depth=1
	s_or_b64 exec, exec, s[20:21]
	s_waitcnt vmcnt(0)
	ds_bpermute_b32 v32, v35, v32
	ds_bpermute_b32 v33, v35, v33
.LBB33_5:                               ;   in Loop: Header=BB33_6 Depth=1
	v_mov_b32_e32 v36, s13
	v_add_co_u32_e32 v22, vcc, s12, v22
	v_addc_co_u32_e32 v21, vcc, v21, v36, vcc
	v_mov_b32_e32 v36, s39
	v_add_co_u32_e32 v24, vcc, s38, v24
	s_waitcnt vmcnt(0) lgkmcnt(0)
	v_mfma_f64_16x16x4f64 v[0:7], v[30:31], v[32:33], v[0:7]
	s_add_u32 s18, s18, 4
	s_addc_u32 s19, s19, 0
	v_addc_co_u32_e32 v23, vcc, v23, v36, vcc
	v_mov_b32_e32 v36, s15
	v_add_co_u32_e32 v26, vcc, s14, v26
	v_addc_co_u32_e32 v27, vcc, v27, v36, vcc
	v_mov_b32_e32 v30, s17
	v_add_co_u32_e32 v28, vcc, s16, v28
	v_addc_co_u32_e32 v29, vcc, v29, v30, vcc
	v_pk_mov_b32 v[30:31], s[40:41], s[40:41] op_sel:[0,1]
	v_cmp_ge_i64_e32 vcc, s[18:19], v[30:31]
	s_cbranch_vccnz .LBB33_28
.LBB33_6:                               ; =>This Inner Loop Header: Depth=1
	s_and_b64 vcc, exec, s[24:25]
	s_cbranch_vccz .LBB33_18
; %bb.7:                                ;   in Loop: Header=BB33_6 Depth=1
	v_pk_mov_b32 v[30:31], 0, 0
	s_and_saveexec_b64 s[20:21], s[2:3]
	s_cbranch_execz .LBB33_11
; %bb.8:                                ;   in Loop: Header=BB33_6 Depth=1
	v_mov_b32_e32 v31, s19
	v_add_co_u32_e32 v30, vcc, s18, v10
	v_addc_co_u32_e32 v31, vcc, 0, v31, vcc
	v_cmp_gt_i64_e32 vcc, s[40:41], v[30:31]
	v_pk_mov_b32 v[30:31], 0, 0
	s_and_saveexec_b64 s[22:23], vcc
	s_cbranch_execz .LBB33_10
; %bb.9:                                ;   in Loop: Header=BB33_6 Depth=1
	v_mov_b32_e32 v31, s37
	v_add_co_u32_e32 v30, vcc, s36, v24
	v_addc_co_u32_e32 v31, vcc, v23, v31, vcc
	global_load_dwordx2 v[30:31], v[30:31], off
.LBB33_10:                              ;   in Loop: Header=BB33_6 Depth=1
	s_or_b64 exec, exec, s[22:23]
.LBB33_11:                              ;   in Loop: Header=BB33_6 Depth=1
	s_or_b64 exec, exec, s[20:21]
	s_waitcnt vmcnt(0)
	ds_bpermute_b32 v30, v35, v30
	ds_bpermute_b32 v31, v35, v31
.LBB33_12:                              ;   in Loop: Header=BB33_6 Depth=1
	s_and_b64 vcc, exec, s[34:35]
	s_cbranch_vccz .LBB33_24
.LBB33_13:                              ;   in Loop: Header=BB33_6 Depth=1
	v_pk_mov_b32 v[32:33], 0, 0
	s_and_saveexec_b64 s[20:21], s[10:11]
	s_cbranch_execz .LBB33_17
; %bb.14:                               ;   in Loop: Header=BB33_6 Depth=1
	v_mov_b32_e32 v33, s19
	v_add_co_u32_e32 v32, vcc, s18, v20
	v_addc_co_u32_e32 v33, vcc, 0, v33, vcc
	v_cmp_gt_i64_e32 vcc, s[40:41], v[32:33]
	v_pk_mov_b32 v[32:33], 0, 0
	s_and_saveexec_b64 s[22:23], vcc
	s_cbranch_execz .LBB33_16
; %bb.15:                               ;   in Loop: Header=BB33_6 Depth=1
	global_load_dwordx2 v[32:33], v[28:29], off
.LBB33_16:                              ;   in Loop: Header=BB33_6 Depth=1
	s_or_b64 exec, exec, s[22:23]
.LBB33_17:                              ;   in Loop: Header=BB33_6 Depth=1
	s_or_b64 exec, exec, s[20:21]
	s_cbranch_execnz .LBB33_5
	s_branch .LBB33_25
.LBB33_18:                              ;   in Loop: Header=BB33_6 Depth=1
                                        ; implicit-def: $vgpr30_vgpr31
	s_cbranch_execz .LBB33_12
; %bb.19:                               ;   in Loop: Header=BB33_6 Depth=1
	s_waitcnt lgkmcnt(0)
	v_pk_mov_b32 v[30:31], 0, 0
	s_and_saveexec_b64 s[20:21], s[6:7]
	s_cbranch_execz .LBB33_23
; %bb.20:                               ;   in Loop: Header=BB33_6 Depth=1
	v_mov_b32_e32 v31, s19
	v_add_co_u32_e32 v30, vcc, s18, v20
	v_addc_co_u32_e32 v31, vcc, 0, v31, vcc
	v_cmp_gt_i64_e32 vcc, s[40:41], v[30:31]
	v_pk_mov_b32 v[30:31], 0, 0
	s_and_saveexec_b64 s[22:23], vcc
	s_cbranch_execz .LBB33_22
; %bb.21:                               ;   in Loop: Header=BB33_6 Depth=1
	v_mov_b32_e32 v31, s37
	v_add_co_u32_e32 v30, vcc, s36, v22
	v_addc_co_u32_e32 v31, vcc, v21, v31, vcc
	global_load_dwordx2 v[30:31], v[30:31], off
.LBB33_22:                              ;   in Loop: Header=BB33_6 Depth=1
	s_or_b64 exec, exec, s[22:23]
.LBB33_23:                              ;   in Loop: Header=BB33_6 Depth=1
	s_or_b64 exec, exec, s[20:21]
	s_and_b64 vcc, exec, s[34:35]
	s_cbranch_vccnz .LBB33_13
.LBB33_24:                              ;   in Loop: Header=BB33_6 Depth=1
                                        ; implicit-def: $vgpr32_vgpr33
.LBB33_25:                              ;   in Loop: Header=BB33_6 Depth=1
	s_waitcnt vmcnt(0)
	v_pk_mov_b32 v[32:33], 0, 0
	s_and_saveexec_b64 s[20:21], s[0:1]
	s_cbranch_execz .LBB33_4
; %bb.26:                               ;   in Loop: Header=BB33_6 Depth=1
	v_mov_b32_e32 v33, s19
	v_add_co_u32_e32 v32, vcc, s18, v10
	v_addc_co_u32_e32 v33, vcc, 0, v33, vcc
	v_cmp_gt_i64_e32 vcc, s[40:41], v[32:33]
	v_pk_mov_b32 v[32:33], 0, 0
	s_and_saveexec_b64 s[22:23], vcc
	s_cbranch_execz .LBB33_3
; %bb.27:                               ;   in Loop: Header=BB33_6 Depth=1
	global_load_dwordx2 v[32:33], v[26:27], off
	s_branch .LBB33_3
.LBB33_28:
	s_load_dwordx8 s[0:7], s[4:5], 0x88
	s_waitcnt lgkmcnt(0)
	s_mul_i32 s7, s8, s7
	s_mul_hi_u32 s9, s8, s6
	s_mul_i32 s6, s8, s6
	s_add_i32 s7, s9, s7
	s_lshl_b64 s[6:7], s[6:7], 3
	s_add_u32 s6, s26, s6
	s_addc_u32 s7, s27, s7
	s_lshl_b64 s[0:1], s[0:1], 3
	s_add_u32 s6, s6, s0
	v_mul_lo_u32 v20, v15, s4
	s_addc_u32 s7, s7, s1
	v_mul_lo_u32 v21, v14, s5
	v_mad_u64_u32 v[14:15], s[0:1], v14, s4, 0
	v_add3_u32 v15, v15, v21, v20
	v_mul_lo_u32 v20, v13, s2
	v_mul_lo_u32 v21, v12, s3
	v_mad_u64_u32 v[12:13], s[0:1], v12, s2, 0
	v_lshlrev_b64 v[14:15], 3, v[14:15]
	v_add3_u32 v13, v13, v21, v20
	v_mov_b32_e32 v20, s7
	v_add_co_u32_e32 v14, vcc, s6, v14
	v_addc_co_u32_e32 v15, vcc, v20, v15, vcc
	v_lshlrev_b64 v[12:13], 3, v[12:13]
	v_add_co_u32_e32 v20, vcc, v14, v12
	v_lshl_or_b32 v12, v25, 4, v18
	v_addc_co_u32_e32 v15, vcc, v15, v13, vcc
	v_mbcnt_hi_u32_b32 v13, -1, v34
	v_and_b32_e32 v12, 63, v12
	v_and_or_b32 v12, v13, 64, v12
	v_lshlrev_b32_e32 v14, 2, v12
	v_mad_u64_u32 v[12:13], s[0:1], v18, s4, 0
	v_cmp_lt_u64_e32 vcc, v[18:19], v[16:17]
	v_mov_b32_e32 v16, v13
	v_mad_u64_u32 v[16:17], s[0:1], v18, s5, v[16:17]
	v_mov_b32_e32 v13, v16
	v_lshlrev_b64 v[12:13], 3, v[12:13]
	ds_bpermute_b32 v0, v14, v0
	ds_bpermute_b32 v1, v14, v1
	v_add_co_u32_e64 v12, s[0:1], v20, v12
	v_addc_co_u32_e64 v13, s[0:1], v15, v13, s[0:1]
	v_cmp_lt_u64_e64 s[0:1], v[10:11], v[8:9]
	s_and_b64 s[0:1], vcc, s[0:1]
	s_and_saveexec_b64 s[4:5], s[0:1]
	s_cbranch_execz .LBB33_30
; %bb.29:
	v_mad_u64_u32 v[16:17], s[0:1], v10, s2, 0
	v_mov_b32_e32 v18, v17
	v_mad_u64_u32 v[18:19], s[0:1], v10, s3, v[18:19]
	v_mov_b32_e32 v17, v18
	v_lshlrev_b64 v[16:17], 3, v[16:17]
	v_add_co_u32_e64 v16, s[0:1], v12, v16
	v_addc_co_u32_e64 v17, s[0:1], v13, v17, s[0:1]
	global_load_dwordx2 v[18:19], v[16:17], off
	s_waitcnt vmcnt(0)
	v_mul_f64 v[18:19], s[30:31], v[18:19]
	s_waitcnt lgkmcnt(0)
	v_fmac_f64_e32 v[18:19], s[28:29], v[0:1]
	global_store_dwordx2 v[16:17], v[18:19], off
.LBB33_30:
	s_or_b64 exec, exec, s[4:5]
	s_waitcnt lgkmcnt(1)
	ds_bpermute_b32 v0, v14, v2
	s_waitcnt lgkmcnt(1)
	ds_bpermute_b32 v1, v14, v3
	v_or_b32_e32 v2, 4, v10
	v_mov_b32_e32 v3, v11
	v_cmp_lt_u64_e64 s[0:1], v[2:3], v[8:9]
	s_and_b64 s[0:1], vcc, s[0:1]
	s_and_saveexec_b64 s[4:5], s[0:1]
	s_cbranch_execz .LBB33_32
; %bb.31:
	v_mad_u64_u32 v[16:17], s[0:1], v2, s2, 0
	v_mov_b32_e32 v18, v17
	v_mad_u64_u32 v[2:3], s[0:1], v2, s3, v[18:19]
	v_mov_b32_e32 v17, v2
	v_lshlrev_b64 v[2:3], 3, v[16:17]
	v_add_co_u32_e64 v2, s[0:1], v12, v2
	v_addc_co_u32_e64 v3, s[0:1], v13, v3, s[0:1]
	global_load_dwordx2 v[16:17], v[2:3], off
	s_waitcnt vmcnt(0)
	v_mul_f64 v[16:17], s[30:31], v[16:17]
	s_waitcnt lgkmcnt(0)
	v_fmac_f64_e32 v[16:17], s[28:29], v[0:1]
	global_store_dwordx2 v[2:3], v[16:17], off
.LBB33_32:
	s_or_b64 exec, exec, s[4:5]
	s_waitcnt lgkmcnt(1)
	ds_bpermute_b32 v0, v14, v4
	s_waitcnt lgkmcnt(1)
	ds_bpermute_b32 v1, v14, v5
	v_or_b32_e32 v2, 8, v10
	v_mov_b32_e32 v3, v11
	v_cmp_lt_u64_e64 s[0:1], v[2:3], v[8:9]
	s_and_b64 s[0:1], vcc, s[0:1]
	s_and_saveexec_b64 s[4:5], s[0:1]
	s_cbranch_execz .LBB33_34
; %bb.33:
	v_mad_u64_u32 v[4:5], s[0:1], v2, s2, 0
	v_mov_b32_e32 v16, v5
	v_mad_u64_u32 v[2:3], s[0:1], v2, s3, v[16:17]
	v_mov_b32_e32 v5, v2
	v_lshlrev_b64 v[2:3], 3, v[4:5]
	v_add_co_u32_e64 v2, s[0:1], v12, v2
	v_addc_co_u32_e64 v3, s[0:1], v13, v3, s[0:1]
	global_load_dwordx2 v[4:5], v[2:3], off
	s_waitcnt vmcnt(0)
	v_mul_f64 v[4:5], s[30:31], v[4:5]
	s_waitcnt lgkmcnt(0)
	v_fmac_f64_e32 v[4:5], s[28:29], v[0:1]
	global_store_dwordx2 v[2:3], v[4:5], off
.LBB33_34:
	s_or_b64 exec, exec, s[4:5]
	s_waitcnt lgkmcnt(1)
	ds_bpermute_b32 v0, v14, v6
	s_waitcnt lgkmcnt(1)
	ds_bpermute_b32 v1, v14, v7
	v_or_b32_e32 v10, 12, v10
	v_cmp_lt_u64_e64 s[0:1], v[10:11], v[8:9]
	s_and_b64 s[0:1], vcc, s[0:1]
	s_and_b64 exec, exec, s[0:1]
	s_cbranch_execz .LBB33_36
; %bb.35:
	v_mad_u64_u32 v[2:3], s[0:1], v10, s2, 0
	v_mov_b32_e32 v4, v3
	v_mad_u64_u32 v[4:5], s[0:1], v10, s3, v[4:5]
	v_mov_b32_e32 v3, v4
	v_lshlrev_b64 v[2:3], 3, v[2:3]
	v_add_co_u32_e32 v2, vcc, v12, v2
	v_addc_co_u32_e32 v3, vcc, v13, v3, vcc
	global_load_dwordx2 v[4:5], v[2:3], off
	s_waitcnt vmcnt(0)
	v_mul_f64 v[4:5], s[30:31], v[4:5]
	s_waitcnt lgkmcnt(0)
	v_fmac_f64_e32 v[4:5], s[28:29], v[0:1]
	global_store_dwordx2 v[2:3], v[4:5], off
.LBB33_36:
	s_endpgm
	.section	.rodata,"a",@progbits
	.p2align	6, 0x0
	.amdhsa_kernel _ZN9rocsolver6v33100L16mfma_gemm_kernelIdlPKdPdS4_S4_EEv18rocblas_operation_S5_T0_S6_S6_T1_T2_lS6_S6_lT3_lS6_S6_lS7_T4_lS6_S6_l
		.amdhsa_group_segment_fixed_size 0
		.amdhsa_private_segment_fixed_size 0
		.amdhsa_kernarg_size 424
		.amdhsa_user_sgpr_count 6
		.amdhsa_user_sgpr_private_segment_buffer 1
		.amdhsa_user_sgpr_dispatch_ptr 0
		.amdhsa_user_sgpr_queue_ptr 0
		.amdhsa_user_sgpr_kernarg_segment_ptr 1
		.amdhsa_user_sgpr_dispatch_id 0
		.amdhsa_user_sgpr_flat_scratch_init 0
		.amdhsa_user_sgpr_kernarg_preload_length 0
		.amdhsa_user_sgpr_kernarg_preload_offset 0
		.amdhsa_user_sgpr_private_segment_size 0
		.amdhsa_uses_dynamic_stack 0
		.amdhsa_system_sgpr_private_segment_wavefront_offset 0
		.amdhsa_system_sgpr_workgroup_id_x 1
		.amdhsa_system_sgpr_workgroup_id_y 1
		.amdhsa_system_sgpr_workgroup_id_z 1
		.amdhsa_system_sgpr_workgroup_info 0
		.amdhsa_system_vgpr_workitem_id 1
		.amdhsa_next_free_vgpr 37
		.amdhsa_next_free_sgpr 52
		.amdhsa_accum_offset 40
		.amdhsa_reserve_vcc 1
		.amdhsa_reserve_flat_scratch 0
		.amdhsa_float_round_mode_32 0
		.amdhsa_float_round_mode_16_64 0
		.amdhsa_float_denorm_mode_32 3
		.amdhsa_float_denorm_mode_16_64 3
		.amdhsa_dx10_clamp 1
		.amdhsa_ieee_mode 1
		.amdhsa_fp16_overflow 0
		.amdhsa_tg_split 0
		.amdhsa_exception_fp_ieee_invalid_op 0
		.amdhsa_exception_fp_denorm_src 0
		.amdhsa_exception_fp_ieee_div_zero 0
		.amdhsa_exception_fp_ieee_overflow 0
		.amdhsa_exception_fp_ieee_underflow 0
		.amdhsa_exception_fp_ieee_inexact 0
		.amdhsa_exception_int_div_zero 0
	.end_amdhsa_kernel
	.section	.text._ZN9rocsolver6v33100L16mfma_gemm_kernelIdlPKdPdS4_S4_EEv18rocblas_operation_S5_T0_S6_S6_T1_T2_lS6_S6_lT3_lS6_S6_lS7_T4_lS6_S6_l,"axG",@progbits,_ZN9rocsolver6v33100L16mfma_gemm_kernelIdlPKdPdS4_S4_EEv18rocblas_operation_S5_T0_S6_S6_T1_T2_lS6_S6_lT3_lS6_S6_lS7_T4_lS6_S6_l,comdat
.Lfunc_end33:
	.size	_ZN9rocsolver6v33100L16mfma_gemm_kernelIdlPKdPdS4_S4_EEv18rocblas_operation_S5_T0_S6_S6_T1_T2_lS6_S6_lT3_lS6_S6_lS7_T4_lS6_S6_l, .Lfunc_end33-_ZN9rocsolver6v33100L16mfma_gemm_kernelIdlPKdPdS4_S4_EEv18rocblas_operation_S5_T0_S6_S6_T1_T2_lS6_S6_lT3_lS6_S6_lS7_T4_lS6_S6_l
                                        ; -- End function
	.section	.AMDGPU.csdata,"",@progbits
; Kernel info:
; codeLenInByte = 2228
; NumSgprs: 56
; NumVgprs: 37
; NumAgprs: 0
; TotalNumVgprs: 37
; ScratchSize: 0
; MemoryBound: 0
; FloatMode: 240
; IeeeMode: 1
; LDSByteSize: 0 bytes/workgroup (compile time only)
; SGPRBlocks: 6
; VGPRBlocks: 4
; NumSGPRsForWavesPerEU: 56
; NumVGPRsForWavesPerEU: 37
; AccumOffset: 40
; Occupancy: 8
; WaveLimiterHint : 0
; COMPUTE_PGM_RSRC2:SCRATCH_EN: 0
; COMPUTE_PGM_RSRC2:USER_SGPR: 6
; COMPUTE_PGM_RSRC2:TRAP_HANDLER: 0
; COMPUTE_PGM_RSRC2:TGID_X_EN: 1
; COMPUTE_PGM_RSRC2:TGID_Y_EN: 1
; COMPUTE_PGM_RSRC2:TGID_Z_EN: 1
; COMPUTE_PGM_RSRC2:TIDIG_COMP_CNT: 1
; COMPUTE_PGM_RSRC3_GFX90A:ACCUM_OFFSET: 9
; COMPUTE_PGM_RSRC3_GFX90A:TG_SPLIT: 0
	.section	.text._ZN9rocsolver6v33100L16mfma_gemm_kernelIdldPdS2_S2_EEv18rocblas_operation_S3_T0_S4_S4_T1_T2_lS4_S4_lT3_lS4_S4_lS5_T4_lS4_S4_l,"axG",@progbits,_ZN9rocsolver6v33100L16mfma_gemm_kernelIdldPdS2_S2_EEv18rocblas_operation_S3_T0_S4_S4_T1_T2_lS4_S4_lT3_lS4_S4_lS5_T4_lS4_S4_l,comdat
	.globl	_ZN9rocsolver6v33100L16mfma_gemm_kernelIdldPdS2_S2_EEv18rocblas_operation_S3_T0_S4_S4_T1_T2_lS4_S4_lT3_lS4_S4_lS5_T4_lS4_S4_l ; -- Begin function _ZN9rocsolver6v33100L16mfma_gemm_kernelIdldPdS2_S2_EEv18rocblas_operation_S3_T0_S4_S4_T1_T2_lS4_S4_lT3_lS4_S4_lS5_T4_lS4_S4_l
	.p2align	8
	.type	_ZN9rocsolver6v33100L16mfma_gemm_kernelIdldPdS2_S2_EEv18rocblas_operation_S3_T0_S4_S4_T1_T2_lS4_S4_lT3_lS4_S4_lS5_T4_lS4_S4_l,@function
_ZN9rocsolver6v33100L16mfma_gemm_kernelIdldPdS2_S2_EEv18rocblas_operation_S3_T0_S4_S4_T1_T2_lS4_S4_lT3_lS4_S4_lS5_T4_lS4_S4_l: ; @_ZN9rocsolver6v33100L16mfma_gemm_kernelIdldPdS2_S2_EEv18rocblas_operation_S3_T0_S4_S4_T1_T2_lS4_S4_lT3_lS4_S4_lS5_T4_lS4_S4_l
; %bb.0:
	s_load_dword s0, s[4:5], 0xb4
	s_load_dwordx16 s[12:27], s[4:5], 0x8
	v_and_b32_e32 v1, 0x3ff, v0
	v_lshrrev_b32_e32 v8, 6, v1
	v_mov_b32_e32 v9, 0
	s_waitcnt lgkmcnt(0)
	s_lshr_b32 s2, s0, 16
	s_bfe_u32 s0, s0, 0xa0006
	v_bfe_u32 v2, v0, 10, 10
	v_mov_b32_e32 v0, s6
	v_mov_b32_e32 v3, v9
	v_mad_u64_u32 v[22:23], s[0:1], s0, v0, v[8:9]
	v_mov_b32_e32 v0, s7
	v_mad_u64_u32 v[26:27], s[0:1], s2, v0, v[2:3]
	v_lshlrev_b64 v[12:13], 4, v[22:23]
	v_lshlrev_b64 v[14:15], 4, v[26:27]
	v_cmp_gt_i64_e32 vcc, s[12:13], v[12:13]
	v_cmp_gt_i64_e64 s[0:1], s[14:15], v[14:15]
	s_and_b64 s[0:1], vcc, s[0:1]
	s_and_saveexec_b64 s[2:3], s[0:1]
	s_cbranch_execz .LBB34_36
; %bb.1:
	v_add_co_u32_e32 v2, vcc, 16, v12
	v_addc_co_u32_e32 v3, vcc, 0, v13, vcc
	s_and_b32 s0, s12, 15
	v_mov_b32_e32 v0, s0
	v_cmp_lt_u64_e32 vcc, s[12:13], v[2:3]
	s_load_dwordx16 s[36:51], s[4:5], 0x48
	v_cndmask_b32_e32 v8, 16, v0, vcc
	v_add_co_u32_e32 v2, vcc, 16, v14
	v_addc_co_u32_e32 v3, vcc, 0, v15, vcc
	s_and_b32 s0, s14, 15
	v_mov_b32_e32 v0, s0
	v_cmp_lt_u64_e32 vcc, s[14:15], v[2:3]
	v_cndmask_b32_e32 v16, 16, v0, vcc
	v_mov_b32_e32 v17, v9
	v_bfe_u32 v18, v1, 2, 4
	v_mov_b32_e32 v19, v9
	v_cmp_lt_i64_e64 s[0:1], s[16:17], 1
	v_pk_mov_b32 v[6:7], 0, 0
	v_and_b32_e32 v25, 63, v1
	v_and_b32_e32 v10, 3, v1
	v_mov_b32_e32 v11, v9
	s_and_b64 vcc, exec, s[0:1]
	v_cmp_lt_u64_e64 s[0:1], v[18:19], v[16:17]
	v_mbcnt_lo_u32_b32 v34, -1, 0
	v_pk_mov_b32 v[4:5], v[6:7], v[6:7] op_sel:[0,1]
	v_pk_mov_b32 v[2:3], v[6:7], v[6:7] op_sel:[0,1]
	;; [unrolled: 1-line block ×3, first 2 shown]
	s_cbranch_vccnz .LBB34_28
; %bb.2:
	s_load_dwordx2 s[2:3], s[4:5], 0x0
	v_mov_b32_e32 v1, 0
	v_and_b32_e32 v0, 15, v25
	v_lshrrev_b32_e32 v20, 4, v25
	v_cmp_lt_u64_e64 s[6:7], v[0:1], v[8:9]
	s_waitcnt lgkmcnt(0)
	s_cmpk_lg_i32 s2, 0x6f
	s_cselect_b64 s[12:13], -1, 0
	s_cmpk_lg_i32 s3, 0x6f
	s_cselect_b64 s[14:15], -1, 0
	s_cmpk_eq_i32 s3, 0x6f
	s_cselect_b32 s9, s44, s42
	s_cselect_b32 s33, s45, s43
	s_cmpk_eq_i32 s2, 0x6f
	s_cselect_b32 s28, s24, s26
	s_cselect_b32 s29, s25, s27
	v_cmp_lt_u64_e64 s[10:11], v[0:1], v[16:17]
	v_mul_lo_u32 v1, s29, v22
	v_mul_lo_u32 v4, s28, v23
	v_mad_u64_u32 v[2:3], s[28:29], s28, v22, 0
	v_add3_u32 v3, v3, v4, v1
	v_mad_u64_u32 v[4:5], s[28:29], s26, v20, 0
	v_mov_b32_e32 v6, v5
	v_mad_u64_u32 v[6:7], s[28:29], s27, v20, v[6:7]
	v_mov_b32_e32 v5, v6
	v_lshlrev_b64 v[2:3], 7, v[2:3]
	v_lshlrev_b64 v[4:5], 3, v[4:5]
	s_mul_i32 s28, s37, s8
	s_mul_hi_u32 s29, s36, s8
	v_add_co_u32_e32 v1, vcc, v2, v4
	s_add_i32 s29, s29, s28
	s_mul_i32 s28, s36, s8
	v_addc_co_u32_e32 v4, vcc, v3, v5, vcc
	s_lshl_b64 s[30:31], s[28:29], 3
	v_mov_b32_e32 v23, s31
	v_add_co_u32_e32 v1, vcc, s30, v1
	v_addc_co_u32_e32 v21, vcc, v4, v23, vcc
	v_mad_u64_u32 v[4:5], s[28:29], s24, v0, 0
	v_mov_b32_e32 v6, v5
	v_mad_u64_u32 v[6:7], s[28:29], s25, v0, v[6:7]
	v_mov_b32_e32 v5, v6
	v_lshlrev_b64 v[4:5], 3, v[4:5]
	v_add_co_u32_e32 v1, vcc, v1, v4
	v_addc_co_u32_e32 v4, vcc, v21, v5, vcc
	v_mov_b32_e32 v5, s21
	v_add_co_u32_e32 v22, vcc, s20, v1
	v_addc_co_u32_e32 v21, vcc, v5, v4, vcc
	v_mad_u64_u32 v[4:5], s[34:35], s26, v18, 0
	v_mov_b32_e32 v6, v5
	s_lshl_b64 s[28:29], s[26:27], 5
	v_mad_u64_u32 v[6:7], s[26:27], s27, v18, v[6:7]
	v_mov_b32_e32 v5, v6
	v_lshlrev_b64 v[4:5], 3, v[4:5]
	v_add_co_u32_e32 v1, vcc, v2, v4
	v_addc_co_u32_e32 v2, vcc, v3, v5, vcc
	v_add_co_u32_e32 v1, vcc, s30, v1
	v_addc_co_u32_e32 v6, vcc, v2, v23, vcc
	v_mad_u64_u32 v[2:3], s[26:27], s24, v10, 0
	v_mov_b32_e32 v4, v3
	v_mad_u64_u32 v[4:5], s[26:27], s25, v10, v[4:5]
	v_mov_b32_e32 v3, v4
	v_lshlrev_b64 v[2:3], 3, v[2:3]
	v_add_co_u32_e32 v1, vcc, v1, v2
	v_addc_co_u32_e32 v2, vcc, v6, v3, vcc
	v_mov_b32_e32 v3, s21
	v_add_co_u32_e32 v24, vcc, s20, v1
	v_addc_co_u32_e32 v23, vcc, v3, v2, vcc
	s_lshl_b64 s[20:21], s[24:25], 5
	v_mul_lo_u32 v1, s33, v26
	v_mul_lo_u32 v4, s9, v27
	v_mad_u64_u32 v[2:3], s[24:25], s9, v26, 0
	v_add3_u32 v3, v3, v4, v1
	v_mad_u64_u32 v[4:5], s[24:25], s44, v18, 0
	v_mov_b32_e32 v6, v5
	v_mad_u64_u32 v[6:7], s[24:25], s45, v18, v[6:7]
	v_mov_b32_e32 v5, v6
	v_lshlrev_b64 v[2:3], 7, v[2:3]
	v_lshlrev_b64 v[4:5], 3, v[4:5]
	s_mul_i32 s9, s47, s8
	s_mul_hi_u32 s24, s46, s8
	v_add_co_u32_e32 v1, vcc, v2, v4
	s_add_i32 s25, s24, s9
	s_mul_i32 s24, s46, s8
	v_addc_co_u32_e32 v4, vcc, v3, v5, vcc
	s_lshl_b64 s[26:27], s[24:25], 3
	v_mov_b32_e32 v28, s27
	v_add_co_u32_e32 v1, vcc, s26, v1
	v_addc_co_u32_e32 v26, vcc, v4, v28, vcc
	v_mad_u64_u32 v[4:5], s[24:25], s42, v10, 0
	v_mov_b32_e32 v6, v5
	v_mad_u64_u32 v[6:7], s[24:25], s43, v10, v[6:7]
	v_mov_b32_e32 v5, v6
	s_lshl_b64 s[22:23], s[22:23], 3
	v_lshlrev_b64 v[4:5], 3, v[4:5]
	s_lshl_b64 s[24:25], s[40:41], 3
	v_add_co_u32_e32 v1, vcc, v1, v4
	s_add_u32 s9, s38, s24
	v_addc_co_u32_e32 v4, vcc, v26, v5, vcc
	s_addc_u32 s33, s39, s25
	v_mov_b32_e32 v5, s33
	v_add_co_u32_e32 v26, vcc, s9, v1
	v_addc_co_u32_e32 v27, vcc, v5, v4, vcc
	v_mad_u64_u32 v[4:5], s[30:31], s44, v20, 0
	v_mov_b32_e32 v6, v5
	v_mad_u64_u32 v[6:7], s[30:31], s45, v20, v[6:7]
	v_mov_b32_e32 v5, v6
	v_lshlrev_b64 v[4:5], 3, v[4:5]
	v_add_co_u32_e32 v1, vcc, v2, v4
	v_addc_co_u32_e32 v2, vcc, v3, v5, vcc
	v_add_co_u32_e32 v5, vcc, s26, v1
	v_addc_co_u32_e32 v6, vcc, v2, v28, vcc
	v_mad_u64_u32 v[2:3], s[26:27], s42, v0, 0
	v_mov_b32_e32 v4, v3
	v_lshl_or_b32 v30, v0, 2, v20
	v_mad_u64_u32 v[0:1], s[26:27], s43, v0, v[4:5]
	v_mov_b32_e32 v3, v0
	v_lshlrev_b64 v[0:1], 3, v[2:3]
	v_add_co_u32_e32 v0, vcc, v5, v0
	v_addc_co_u32_e32 v1, vcc, v6, v1, vcc
	v_mov_b32_e32 v2, s33
	v_add_co_u32_e32 v28, vcc, s9, v0
	v_addc_co_u32_e32 v29, vcc, v2, v1, vcc
	v_mbcnt_hi_u32_b32 v2, -1, v34
	v_pk_mov_b32 v[0:1], 0, 0
	v_and_or_b32 v2, v2, 64, v30
	v_cmp_lt_u64_e64 s[2:3], v[18:19], v[8:9]
	s_lshl_b64 s[24:25], s[42:43], 5
	s_lshl_b64 s[26:27], s[44:45], 5
	s_mov_b64 s[30:31], 0
	v_lshlrev_b32_e32 v35, 2, v2
	v_pk_mov_b32 v[2:3], v[0:1], v[0:1] op_sel:[0,1]
	v_pk_mov_b32 v[4:5], v[0:1], v[0:1] op_sel:[0,1]
	;; [unrolled: 1-line block ×3, first 2 shown]
	s_branch .LBB34_6
.LBB34_3:                               ;   in Loop: Header=BB34_6 Depth=1
	s_or_b64 exec, exec, s[36:37]
.LBB34_4:                               ;   in Loop: Header=BB34_6 Depth=1
	s_or_b64 exec, exec, s[34:35]
	s_waitcnt vmcnt(0)
	ds_bpermute_b32 v32, v35, v32
	ds_bpermute_b32 v33, v35, v33
.LBB34_5:                               ;   in Loop: Header=BB34_6 Depth=1
	v_mov_b32_e32 v36, s29
	v_add_co_u32_e32 v22, vcc, s28, v22
	v_addc_co_u32_e32 v21, vcc, v21, v36, vcc
	v_mov_b32_e32 v36, s21
	v_add_co_u32_e32 v24, vcc, s20, v24
	s_waitcnt vmcnt(0) lgkmcnt(0)
	v_mfma_f64_16x16x4f64 v[0:7], v[30:31], v[32:33], v[0:7]
	s_add_u32 s30, s30, 4
	s_addc_u32 s31, s31, 0
	v_addc_co_u32_e32 v23, vcc, v23, v36, vcc
	v_mov_b32_e32 v36, s25
	v_add_co_u32_e32 v26, vcc, s24, v26
	v_addc_co_u32_e32 v27, vcc, v27, v36, vcc
	v_mov_b32_e32 v30, s27
	v_add_co_u32_e32 v28, vcc, s26, v28
	v_addc_co_u32_e32 v29, vcc, v29, v30, vcc
	v_pk_mov_b32 v[30:31], s[16:17], s[16:17] op_sel:[0,1]
	v_cmp_ge_i64_e32 vcc, s[30:31], v[30:31]
	s_cbranch_vccnz .LBB34_28
.LBB34_6:                               ; =>This Inner Loop Header: Depth=1
	s_and_b64 vcc, exec, s[12:13]
	s_cbranch_vccz .LBB34_18
; %bb.7:                                ;   in Loop: Header=BB34_6 Depth=1
	v_pk_mov_b32 v[30:31], 0, 0
	s_and_saveexec_b64 s[34:35], s[2:3]
	s_cbranch_execz .LBB34_11
; %bb.8:                                ;   in Loop: Header=BB34_6 Depth=1
	v_mov_b32_e32 v31, s31
	v_add_co_u32_e32 v30, vcc, s30, v10
	v_addc_co_u32_e32 v31, vcc, 0, v31, vcc
	v_cmp_gt_i64_e32 vcc, s[16:17], v[30:31]
	v_pk_mov_b32 v[30:31], 0, 0
	s_and_saveexec_b64 s[36:37], vcc
	s_cbranch_execz .LBB34_10
; %bb.9:                                ;   in Loop: Header=BB34_6 Depth=1
	v_mov_b32_e32 v31, s23
	v_add_co_u32_e32 v30, vcc, s22, v24
	v_addc_co_u32_e32 v31, vcc, v23, v31, vcc
	global_load_dwordx2 v[30:31], v[30:31], off
.LBB34_10:                              ;   in Loop: Header=BB34_6 Depth=1
	s_or_b64 exec, exec, s[36:37]
.LBB34_11:                              ;   in Loop: Header=BB34_6 Depth=1
	s_or_b64 exec, exec, s[34:35]
	s_waitcnt vmcnt(0)
	ds_bpermute_b32 v30, v35, v30
	ds_bpermute_b32 v31, v35, v31
.LBB34_12:                              ;   in Loop: Header=BB34_6 Depth=1
	s_and_b64 vcc, exec, s[14:15]
	s_cbranch_vccz .LBB34_24
.LBB34_13:                              ;   in Loop: Header=BB34_6 Depth=1
	v_pk_mov_b32 v[32:33], 0, 0
	s_and_saveexec_b64 s[34:35], s[10:11]
	s_cbranch_execz .LBB34_17
; %bb.14:                               ;   in Loop: Header=BB34_6 Depth=1
	v_mov_b32_e32 v33, s31
	v_add_co_u32_e32 v32, vcc, s30, v20
	v_addc_co_u32_e32 v33, vcc, 0, v33, vcc
	v_cmp_gt_i64_e32 vcc, s[16:17], v[32:33]
	v_pk_mov_b32 v[32:33], 0, 0
	s_and_saveexec_b64 s[36:37], vcc
	s_cbranch_execz .LBB34_16
; %bb.15:                               ;   in Loop: Header=BB34_6 Depth=1
	global_load_dwordx2 v[32:33], v[28:29], off
.LBB34_16:                              ;   in Loop: Header=BB34_6 Depth=1
	s_or_b64 exec, exec, s[36:37]
.LBB34_17:                              ;   in Loop: Header=BB34_6 Depth=1
	s_or_b64 exec, exec, s[34:35]
	s_cbranch_execnz .LBB34_5
	s_branch .LBB34_25
.LBB34_18:                              ;   in Loop: Header=BB34_6 Depth=1
                                        ; implicit-def: $vgpr30_vgpr31
	s_cbranch_execz .LBB34_12
; %bb.19:                               ;   in Loop: Header=BB34_6 Depth=1
	s_waitcnt lgkmcnt(0)
	v_pk_mov_b32 v[30:31], 0, 0
	s_and_saveexec_b64 s[34:35], s[6:7]
	s_cbranch_execz .LBB34_23
; %bb.20:                               ;   in Loop: Header=BB34_6 Depth=1
	v_mov_b32_e32 v31, s31
	v_add_co_u32_e32 v30, vcc, s30, v20
	v_addc_co_u32_e32 v31, vcc, 0, v31, vcc
	v_cmp_gt_i64_e32 vcc, s[16:17], v[30:31]
	v_pk_mov_b32 v[30:31], 0, 0
	s_and_saveexec_b64 s[36:37], vcc
	s_cbranch_execz .LBB34_22
; %bb.21:                               ;   in Loop: Header=BB34_6 Depth=1
	v_mov_b32_e32 v31, s23
	v_add_co_u32_e32 v30, vcc, s22, v22
	v_addc_co_u32_e32 v31, vcc, v21, v31, vcc
	global_load_dwordx2 v[30:31], v[30:31], off
.LBB34_22:                              ;   in Loop: Header=BB34_6 Depth=1
	s_or_b64 exec, exec, s[36:37]
.LBB34_23:                              ;   in Loop: Header=BB34_6 Depth=1
	s_or_b64 exec, exec, s[34:35]
	s_and_b64 vcc, exec, s[14:15]
	s_cbranch_vccnz .LBB34_13
.LBB34_24:                              ;   in Loop: Header=BB34_6 Depth=1
                                        ; implicit-def: $vgpr32_vgpr33
.LBB34_25:                              ;   in Loop: Header=BB34_6 Depth=1
	s_waitcnt vmcnt(0)
	v_pk_mov_b32 v[32:33], 0, 0
	s_and_saveexec_b64 s[34:35], s[0:1]
	s_cbranch_execz .LBB34_4
; %bb.26:                               ;   in Loop: Header=BB34_6 Depth=1
	v_mov_b32_e32 v33, s31
	v_add_co_u32_e32 v32, vcc, s30, v10
	v_addc_co_u32_e32 v33, vcc, 0, v33, vcc
	v_cmp_gt_i64_e32 vcc, s[16:17], v[32:33]
	v_pk_mov_b32 v[32:33], 0, 0
	s_and_saveexec_b64 s[36:37], vcc
	s_cbranch_execz .LBB34_3
; %bb.27:                               ;   in Loop: Header=BB34_6 Depth=1
	global_load_dwordx2 v[32:33], v[26:27], off
	s_branch .LBB34_3
.LBB34_28:
	s_load_dwordx8 s[0:7], s[4:5], 0x88
	s_waitcnt lgkmcnt(0)
	s_mul_i32 s7, s8, s7
	s_mul_hi_u32 s9, s8, s6
	s_mul_i32 s6, s8, s6
	s_add_i32 s7, s9, s7
	s_lshl_b64 s[6:7], s[6:7], 3
	s_add_u32 s6, s50, s6
	s_addc_u32 s7, s51, s7
	s_lshl_b64 s[0:1], s[0:1], 3
	s_add_u32 s6, s6, s0
	v_mul_lo_u32 v20, v15, s4
	s_addc_u32 s7, s7, s1
	v_mul_lo_u32 v21, v14, s5
	v_mad_u64_u32 v[14:15], s[0:1], v14, s4, 0
	v_add3_u32 v15, v15, v21, v20
	v_mul_lo_u32 v20, v13, s2
	v_mul_lo_u32 v21, v12, s3
	v_mad_u64_u32 v[12:13], s[0:1], v12, s2, 0
	v_lshlrev_b64 v[14:15], 3, v[14:15]
	v_add3_u32 v13, v13, v21, v20
	v_mov_b32_e32 v20, s7
	v_add_co_u32_e32 v14, vcc, s6, v14
	v_addc_co_u32_e32 v15, vcc, v20, v15, vcc
	v_lshlrev_b64 v[12:13], 3, v[12:13]
	v_add_co_u32_e32 v20, vcc, v14, v12
	v_lshl_or_b32 v12, v25, 4, v18
	v_addc_co_u32_e32 v15, vcc, v15, v13, vcc
	v_mbcnt_hi_u32_b32 v13, -1, v34
	v_and_b32_e32 v12, 63, v12
	v_and_or_b32 v12, v13, 64, v12
	v_lshlrev_b32_e32 v14, 2, v12
	v_mad_u64_u32 v[12:13], s[0:1], v18, s4, 0
	v_cmp_lt_u64_e32 vcc, v[18:19], v[16:17]
	v_mov_b32_e32 v16, v13
	v_mad_u64_u32 v[16:17], s[0:1], v18, s5, v[16:17]
	v_mov_b32_e32 v13, v16
	v_lshlrev_b64 v[12:13], 3, v[12:13]
	ds_bpermute_b32 v0, v14, v0
	ds_bpermute_b32 v1, v14, v1
	v_add_co_u32_e64 v12, s[0:1], v20, v12
	v_addc_co_u32_e64 v13, s[0:1], v15, v13, s[0:1]
	v_cmp_lt_u64_e64 s[0:1], v[10:11], v[8:9]
	s_and_b64 s[0:1], vcc, s[0:1]
	s_and_saveexec_b64 s[4:5], s[0:1]
	s_cbranch_execz .LBB34_30
; %bb.29:
	v_mad_u64_u32 v[16:17], s[0:1], v10, s2, 0
	v_mov_b32_e32 v18, v17
	v_mad_u64_u32 v[18:19], s[0:1], v10, s3, v[18:19]
	v_mov_b32_e32 v17, v18
	v_lshlrev_b64 v[16:17], 3, v[16:17]
	v_add_co_u32_e64 v16, s[0:1], v12, v16
	v_addc_co_u32_e64 v17, s[0:1], v13, v17, s[0:1]
	global_load_dwordx2 v[18:19], v[16:17], off
	s_waitcnt vmcnt(0)
	v_mul_f64 v[18:19], v[18:19], s[48:49]
	s_waitcnt lgkmcnt(0)
	v_fmac_f64_e32 v[18:19], s[18:19], v[0:1]
	global_store_dwordx2 v[16:17], v[18:19], off
.LBB34_30:
	s_or_b64 exec, exec, s[4:5]
	s_waitcnt lgkmcnt(1)
	ds_bpermute_b32 v0, v14, v2
	s_waitcnt lgkmcnt(1)
	ds_bpermute_b32 v1, v14, v3
	v_or_b32_e32 v2, 4, v10
	v_mov_b32_e32 v3, v11
	v_cmp_lt_u64_e64 s[0:1], v[2:3], v[8:9]
	s_and_b64 s[0:1], vcc, s[0:1]
	s_and_saveexec_b64 s[4:5], s[0:1]
	s_cbranch_execz .LBB34_32
; %bb.31:
	v_mad_u64_u32 v[16:17], s[0:1], v2, s2, 0
	v_mov_b32_e32 v18, v17
	v_mad_u64_u32 v[2:3], s[0:1], v2, s3, v[18:19]
	v_mov_b32_e32 v17, v2
	v_lshlrev_b64 v[2:3], 3, v[16:17]
	v_add_co_u32_e64 v2, s[0:1], v12, v2
	v_addc_co_u32_e64 v3, s[0:1], v13, v3, s[0:1]
	global_load_dwordx2 v[16:17], v[2:3], off
	s_waitcnt vmcnt(0)
	v_mul_f64 v[16:17], v[16:17], s[48:49]
	s_waitcnt lgkmcnt(0)
	v_fmac_f64_e32 v[16:17], s[18:19], v[0:1]
	global_store_dwordx2 v[2:3], v[16:17], off
.LBB34_32:
	s_or_b64 exec, exec, s[4:5]
	s_waitcnt lgkmcnt(1)
	ds_bpermute_b32 v0, v14, v4
	s_waitcnt lgkmcnt(1)
	ds_bpermute_b32 v1, v14, v5
	v_or_b32_e32 v2, 8, v10
	v_mov_b32_e32 v3, v11
	v_cmp_lt_u64_e64 s[0:1], v[2:3], v[8:9]
	s_and_b64 s[0:1], vcc, s[0:1]
	s_and_saveexec_b64 s[4:5], s[0:1]
	s_cbranch_execz .LBB34_34
; %bb.33:
	v_mad_u64_u32 v[4:5], s[0:1], v2, s2, 0
	v_mov_b32_e32 v16, v5
	v_mad_u64_u32 v[2:3], s[0:1], v2, s3, v[16:17]
	v_mov_b32_e32 v5, v2
	v_lshlrev_b64 v[2:3], 3, v[4:5]
	v_add_co_u32_e64 v2, s[0:1], v12, v2
	v_addc_co_u32_e64 v3, s[0:1], v13, v3, s[0:1]
	global_load_dwordx2 v[4:5], v[2:3], off
	s_waitcnt vmcnt(0)
	v_mul_f64 v[4:5], v[4:5], s[48:49]
	s_waitcnt lgkmcnt(0)
	v_fmac_f64_e32 v[4:5], s[18:19], v[0:1]
	global_store_dwordx2 v[2:3], v[4:5], off
.LBB34_34:
	s_or_b64 exec, exec, s[4:5]
	s_waitcnt lgkmcnt(1)
	ds_bpermute_b32 v0, v14, v6
	s_waitcnt lgkmcnt(1)
	ds_bpermute_b32 v1, v14, v7
	v_or_b32_e32 v10, 12, v10
	v_cmp_lt_u64_e64 s[0:1], v[10:11], v[8:9]
	s_and_b64 s[0:1], vcc, s[0:1]
	s_and_b64 exec, exec, s[0:1]
	s_cbranch_execz .LBB34_36
; %bb.35:
	v_mad_u64_u32 v[2:3], s[0:1], v10, s2, 0
	v_mov_b32_e32 v4, v3
	v_mad_u64_u32 v[4:5], s[0:1], v10, s3, v[4:5]
	v_mov_b32_e32 v3, v4
	v_lshlrev_b64 v[2:3], 3, v[2:3]
	v_add_co_u32_e32 v2, vcc, v12, v2
	v_addc_co_u32_e32 v3, vcc, v13, v3, vcc
	global_load_dwordx2 v[4:5], v[2:3], off
	s_waitcnt vmcnt(0)
	v_mul_f64 v[4:5], v[4:5], s[48:49]
	s_waitcnt lgkmcnt(0)
	v_fmac_f64_e32 v[4:5], s[18:19], v[0:1]
	global_store_dwordx2 v[2:3], v[4:5], off
.LBB34_36:
	s_endpgm
	.section	.rodata,"a",@progbits
	.p2align	6, 0x0
	.amdhsa_kernel _ZN9rocsolver6v33100L16mfma_gemm_kernelIdldPdS2_S2_EEv18rocblas_operation_S3_T0_S4_S4_T1_T2_lS4_S4_lT3_lS4_S4_lS5_T4_lS4_S4_l
		.amdhsa_group_segment_fixed_size 0
		.amdhsa_private_segment_fixed_size 0
		.amdhsa_kernarg_size 424
		.amdhsa_user_sgpr_count 6
		.amdhsa_user_sgpr_private_segment_buffer 1
		.amdhsa_user_sgpr_dispatch_ptr 0
		.amdhsa_user_sgpr_queue_ptr 0
		.amdhsa_user_sgpr_kernarg_segment_ptr 1
		.amdhsa_user_sgpr_dispatch_id 0
		.amdhsa_user_sgpr_flat_scratch_init 0
		.amdhsa_user_sgpr_kernarg_preload_length 0
		.amdhsa_user_sgpr_kernarg_preload_offset 0
		.amdhsa_user_sgpr_private_segment_size 0
		.amdhsa_uses_dynamic_stack 0
		.amdhsa_system_sgpr_private_segment_wavefront_offset 0
		.amdhsa_system_sgpr_workgroup_id_x 1
		.amdhsa_system_sgpr_workgroup_id_y 1
		.amdhsa_system_sgpr_workgroup_id_z 1
		.amdhsa_system_sgpr_workgroup_info 0
		.amdhsa_system_vgpr_workitem_id 1
		.amdhsa_next_free_vgpr 37
		.amdhsa_next_free_sgpr 52
		.amdhsa_accum_offset 40
		.amdhsa_reserve_vcc 1
		.amdhsa_reserve_flat_scratch 0
		.amdhsa_float_round_mode_32 0
		.amdhsa_float_round_mode_16_64 0
		.amdhsa_float_denorm_mode_32 3
		.amdhsa_float_denorm_mode_16_64 3
		.amdhsa_dx10_clamp 1
		.amdhsa_ieee_mode 1
		.amdhsa_fp16_overflow 0
		.amdhsa_tg_split 0
		.amdhsa_exception_fp_ieee_invalid_op 0
		.amdhsa_exception_fp_denorm_src 0
		.amdhsa_exception_fp_ieee_div_zero 0
		.amdhsa_exception_fp_ieee_overflow 0
		.amdhsa_exception_fp_ieee_underflow 0
		.amdhsa_exception_fp_ieee_inexact 0
		.amdhsa_exception_int_div_zero 0
	.end_amdhsa_kernel
	.section	.text._ZN9rocsolver6v33100L16mfma_gemm_kernelIdldPdS2_S2_EEv18rocblas_operation_S3_T0_S4_S4_T1_T2_lS4_S4_lT3_lS4_S4_lS5_T4_lS4_S4_l,"axG",@progbits,_ZN9rocsolver6v33100L16mfma_gemm_kernelIdldPdS2_S2_EEv18rocblas_operation_S3_T0_S4_S4_T1_T2_lS4_S4_lT3_lS4_S4_lS5_T4_lS4_S4_l,comdat
.Lfunc_end34:
	.size	_ZN9rocsolver6v33100L16mfma_gemm_kernelIdldPdS2_S2_EEv18rocblas_operation_S3_T0_S4_S4_T1_T2_lS4_S4_lT3_lS4_S4_lS5_T4_lS4_S4_l, .Lfunc_end34-_ZN9rocsolver6v33100L16mfma_gemm_kernelIdldPdS2_S2_EEv18rocblas_operation_S3_T0_S4_S4_T1_T2_lS4_S4_lT3_lS4_S4_lS5_T4_lS4_S4_l
                                        ; -- End function
	.section	.AMDGPU.csdata,"",@progbits
; Kernel info:
; codeLenInByte = 2208
; NumSgprs: 56
; NumVgprs: 37
; NumAgprs: 0
; TotalNumVgprs: 37
; ScratchSize: 0
; MemoryBound: 0
; FloatMode: 240
; IeeeMode: 1
; LDSByteSize: 0 bytes/workgroup (compile time only)
; SGPRBlocks: 6
; VGPRBlocks: 4
; NumSGPRsForWavesPerEU: 56
; NumVGPRsForWavesPerEU: 37
; AccumOffset: 40
; Occupancy: 8
; WaveLimiterHint : 0
; COMPUTE_PGM_RSRC2:SCRATCH_EN: 0
; COMPUTE_PGM_RSRC2:USER_SGPR: 6
; COMPUTE_PGM_RSRC2:TRAP_HANDLER: 0
; COMPUTE_PGM_RSRC2:TGID_X_EN: 1
; COMPUTE_PGM_RSRC2:TGID_Y_EN: 1
; COMPUTE_PGM_RSRC2:TGID_Z_EN: 1
; COMPUTE_PGM_RSRC2:TIDIG_COMP_CNT: 1
; COMPUTE_PGM_RSRC3_GFX90A:ACCUM_OFFSET: 9
; COMPUTE_PGM_RSRC3_GFX90A:TG_SPLIT: 0
	.section	.text._ZN9rocsolver6v33100L11gemm_kernelIdlPKdPdS4_S4_EEvT0_S5_S5_T1_bT2_lS5_S5_lbT3_lS5_S5_lS6_T4_lS5_S5_l,"axG",@progbits,_ZN9rocsolver6v33100L11gemm_kernelIdlPKdPdS4_S4_EEvT0_S5_S5_T1_bT2_lS5_S5_lbT3_lS5_S5_lS6_T4_lS5_S5_l,comdat
	.globl	_ZN9rocsolver6v33100L11gemm_kernelIdlPKdPdS4_S4_EEvT0_S5_S5_T1_bT2_lS5_S5_lbT3_lS5_S5_lS6_T4_lS5_S5_l ; -- Begin function _ZN9rocsolver6v33100L11gemm_kernelIdlPKdPdS4_S4_EEvT0_S5_S5_T1_bT2_lS5_S5_lbT3_lS5_S5_lS6_T4_lS5_S5_l
	.p2align	8
	.type	_ZN9rocsolver6v33100L11gemm_kernelIdlPKdPdS4_S4_EEvT0_S5_S5_T1_bT2_lS5_S5_lbT3_lS5_S5_lS6_T4_lS5_S5_l,@function
_ZN9rocsolver6v33100L11gemm_kernelIdlPKdPdS4_S4_EEvT0_S5_S5_T1_bT2_lS5_S5_lbT3_lS5_S5_lS6_T4_lS5_S5_l: ; @_ZN9rocsolver6v33100L11gemm_kernelIdlPKdPdS4_S4_EEvT0_S5_S5_T1_bT2_lS5_S5_lbT3_lS5_S5_lS6_T4_lS5_S5_l
; %bb.0:
	s_load_dword s0, s[4:5], 0xbc
	s_load_dwordx8 s[24:31], s[4:5], 0x0
	v_and_b32_e32 v4, 0x3ff, v0
	v_mov_b32_e32 v5, 0
	v_mov_b32_e32 v1, s6
	s_waitcnt lgkmcnt(0)
	s_lshr_b32 s2, s0, 16
	s_and_b32 s0, s0, 0xffff
	v_mad_u64_u32 v[2:3], s[0:1], s0, v1, v[4:5]
	v_bfe_u32 v4, v0, 10, 10
	v_mov_b32_e32 v0, s7
	v_mad_u64_u32 v[0:1], s[0:1], s2, v0, v[4:5]
	v_cmp_gt_i64_e32 vcc, s[24:25], v[2:3]
	v_cmp_gt_i64_e64 s[0:1], s[26:27], v[0:1]
	s_and_b64 s[0:1], vcc, s[0:1]
	s_and_saveexec_b64 s[2:3], s[0:1]
	s_cbranch_execz .LBB35_6
; %bb.1:
	s_load_dwordx16 s[12:27], s[4:5], 0x58
	v_cmp_lt_i64_e64 s[0:1], s[28:29], 1
	s_and_b64 vcc, exec, s[0:1]
	s_cbranch_vccnz .LBB35_4
; %bb.2:
	s_load_dwordx2 s[0:1], s[4:5], 0x48
	s_load_dwordx8 s[36:43], s[4:5], 0x28
	s_waitcnt lgkmcnt(0)
	v_mul_lo_u32 v8, v1, s18
	v_mul_lo_u32 v9, v0, s19
	s_mul_i32 s1, s8, s1
	s_mul_hi_u32 s2, s8, s0
	s_mul_i32 s0, s8, s0
	s_add_i32 s1, s2, s1
	s_lshl_b64 s[0:1], s[0:1], 3
	s_add_u32 s2, s36, s0
	s_addc_u32 s3, s37, s1
	s_lshl_b64 s[0:1], s[38:39], 3
	s_add_u32 s2, s2, s0
	s_addc_u32 s3, s3, s1
	s_mul_i32 s0, s8, s21
	s_mul_hi_u32 s1, s8, s20
	s_add_i32 s1, s1, s0
	s_mul_i32 s0, s8, s20
	s_lshl_b64 s[0:1], s[0:1], 3
	s_add_u32 s6, s12, s0
	s_addc_u32 s7, s13, s1
	s_lshl_b64 s[0:1], s[14:15], 3
	s_add_u32 s6, s6, s0
	s_addc_u32 s7, s7, s1
	v_mul_lo_u32 v6, v3, s40
	v_mul_lo_u32 v7, v2, s41
	v_mad_u64_u32 v[4:5], s[0:1], v2, s40, 0
	v_add3_u32 v5, v5, v7, v6
	v_lshlrev_b64 v[4:5], 3, v[4:5]
	v_mov_b32_e32 v7, s3
	v_add_co_u32_e32 v6, vcc, s2, v4
	v_addc_co_u32_e32 v7, vcc, v7, v5, vcc
	v_mad_u64_u32 v[4:5], s[0:1], v0, s18, 0
	v_add3_u32 v5, v5, v9, v8
	v_lshlrev_b64 v[4:5], 3, v[4:5]
	v_mov_b32_e32 v9, s7
	v_add_co_u32_e32 v8, vcc, s6, v4
	s_lshl_b64 s[0:1], s[16:17], 3
	s_lshl_b64 s[2:3], s[42:43], 3
	v_addc_co_u32_e32 v9, vcc, v9, v5, vcc
	v_pk_mov_b32 v[4:5], 0, 0
	v_mov_b32_e32 v10, s1
	v_mov_b32_e32 v11, s3
.LBB35_3:                               ; =>This Inner Loop Header: Depth=1
	global_load_dwordx2 v[12:13], v[6:7], off
	global_load_dwordx2 v[14:15], v[8:9], off
	v_add_co_u32_e32 v8, vcc, s0, v8
	v_addc_co_u32_e32 v9, vcc, v9, v10, vcc
	s_add_u32 s28, s28, -1
	v_add_co_u32_e32 v6, vcc, s2, v6
	s_addc_u32 s29, s29, -1
	v_addc_co_u32_e32 v7, vcc, v7, v11, vcc
	s_cmp_eq_u64 s[28:29], 0
	s_waitcnt vmcnt(0)
	v_fmac_f64_e32 v[4:5], v[12:13], v[14:15]
	s_cbranch_scc0 .LBB35_3
	s_branch .LBB35_5
.LBB35_4:
	v_pk_mov_b32 v[4:5], 0, 0
.LBB35_5:
	s_load_dwordx2 s[0:1], s[30:31], 0x0
	s_waitcnt lgkmcnt(0)
	s_load_dwordx2 s[2:3], s[22:23], 0x0
                                        ; kill: killed $sgpr30_sgpr31
                                        ; kill: killed $sgpr22_sgpr23
	s_load_dwordx2 s[6:7], s[4:5], 0xa8
	s_load_dwordx4 s[12:15], s[4:5], 0x98
	s_waitcnt lgkmcnt(0)
	s_mul_i32 s5, s8, s7
	s_mul_hi_u32 s7, s8, s6
	s_mul_i32 s4, s8, s6
	s_add_i32 s5, s7, s5
	s_lshl_b64 s[4:5], s[4:5], 3
	s_add_u32 s6, s24, s4
	s_addc_u32 s7, s25, s5
	s_lshl_b64 s[4:5], s[26:27], 3
	s_add_u32 s6, s6, s4
	s_addc_u32 s7, s7, s5
	v_mul_lo_u32 v6, v3, s12
	v_mul_lo_u32 v7, v2, s13
	v_mad_u64_u32 v[2:3], s[4:5], v2, s12, 0
	v_add3_u32 v3, v3, v7, v6
	v_mul_lo_u32 v6, v1, s14
	v_mul_lo_u32 v7, v0, s15
	v_mad_u64_u32 v[0:1], s[4:5], v0, s14, 0
	v_lshlrev_b64 v[2:3], 3, v[2:3]
	v_add3_u32 v1, v1, v7, v6
	v_mov_b32_e32 v6, s7
	v_add_co_u32_e32 v2, vcc, s6, v2
	v_addc_co_u32_e32 v3, vcc, v6, v3, vcc
	v_lshlrev_b64 v[0:1], 3, v[0:1]
	v_add_co_u32_e32 v0, vcc, v2, v0
	v_addc_co_u32_e32 v1, vcc, v3, v1, vcc
	global_load_dwordx2 v[2:3], v[0:1], off
	s_waitcnt vmcnt(0)
	v_mul_f64 v[2:3], s[2:3], v[2:3]
	v_fmac_f64_e32 v[2:3], s[0:1], v[4:5]
	global_store_dwordx2 v[0:1], v[2:3], off
.LBB35_6:
	s_endpgm
	.section	.rodata,"a",@progbits
	.p2align	6, 0x0
	.amdhsa_kernel _ZN9rocsolver6v33100L11gemm_kernelIdlPKdPdS4_S4_EEvT0_S5_S5_T1_bT2_lS5_S5_lbT3_lS5_S5_lS6_T4_lS5_S5_l
		.amdhsa_group_segment_fixed_size 0
		.amdhsa_private_segment_fixed_size 0
		.amdhsa_kernarg_size 432
		.amdhsa_user_sgpr_count 6
		.amdhsa_user_sgpr_private_segment_buffer 1
		.amdhsa_user_sgpr_dispatch_ptr 0
		.amdhsa_user_sgpr_queue_ptr 0
		.amdhsa_user_sgpr_kernarg_segment_ptr 1
		.amdhsa_user_sgpr_dispatch_id 0
		.amdhsa_user_sgpr_flat_scratch_init 0
		.amdhsa_user_sgpr_kernarg_preload_length 0
		.amdhsa_user_sgpr_kernarg_preload_offset 0
		.amdhsa_user_sgpr_private_segment_size 0
		.amdhsa_uses_dynamic_stack 0
		.amdhsa_system_sgpr_private_segment_wavefront_offset 0
		.amdhsa_system_sgpr_workgroup_id_x 1
		.amdhsa_system_sgpr_workgroup_id_y 1
		.amdhsa_system_sgpr_workgroup_id_z 1
		.amdhsa_system_sgpr_workgroup_info 0
		.amdhsa_system_vgpr_workitem_id 1
		.amdhsa_next_free_vgpr 16
		.amdhsa_next_free_sgpr 44
		.amdhsa_accum_offset 16
		.amdhsa_reserve_vcc 1
		.amdhsa_reserve_flat_scratch 0
		.amdhsa_float_round_mode_32 0
		.amdhsa_float_round_mode_16_64 0
		.amdhsa_float_denorm_mode_32 3
		.amdhsa_float_denorm_mode_16_64 3
		.amdhsa_dx10_clamp 1
		.amdhsa_ieee_mode 1
		.amdhsa_fp16_overflow 0
		.amdhsa_tg_split 0
		.amdhsa_exception_fp_ieee_invalid_op 0
		.amdhsa_exception_fp_denorm_src 0
		.amdhsa_exception_fp_ieee_div_zero 0
		.amdhsa_exception_fp_ieee_overflow 0
		.amdhsa_exception_fp_ieee_underflow 0
		.amdhsa_exception_fp_ieee_inexact 0
		.amdhsa_exception_int_div_zero 0
	.end_amdhsa_kernel
	.section	.text._ZN9rocsolver6v33100L11gemm_kernelIdlPKdPdS4_S4_EEvT0_S5_S5_T1_bT2_lS5_S5_lbT3_lS5_S5_lS6_T4_lS5_S5_l,"axG",@progbits,_ZN9rocsolver6v33100L11gemm_kernelIdlPKdPdS4_S4_EEvT0_S5_S5_T1_bT2_lS5_S5_lbT3_lS5_S5_lS6_T4_lS5_S5_l,comdat
.Lfunc_end35:
	.size	_ZN9rocsolver6v33100L11gemm_kernelIdlPKdPdS4_S4_EEvT0_S5_S5_T1_bT2_lS5_S5_lbT3_lS5_S5_lS6_T4_lS5_S5_l, .Lfunc_end35-_ZN9rocsolver6v33100L11gemm_kernelIdlPKdPdS4_S4_EEvT0_S5_S5_T1_bT2_lS5_S5_lbT3_lS5_S5_lS6_T4_lS5_S5_l
                                        ; -- End function
	.section	.AMDGPU.csdata,"",@progbits
; Kernel info:
; codeLenInByte = 636
; NumSgprs: 48
; NumVgprs: 16
; NumAgprs: 0
; TotalNumVgprs: 16
; ScratchSize: 0
; MemoryBound: 0
; FloatMode: 240
; IeeeMode: 1
; LDSByteSize: 0 bytes/workgroup (compile time only)
; SGPRBlocks: 5
; VGPRBlocks: 1
; NumSGPRsForWavesPerEU: 48
; NumVGPRsForWavesPerEU: 16
; AccumOffset: 16
; Occupancy: 8
; WaveLimiterHint : 0
; COMPUTE_PGM_RSRC2:SCRATCH_EN: 0
; COMPUTE_PGM_RSRC2:USER_SGPR: 6
; COMPUTE_PGM_RSRC2:TRAP_HANDLER: 0
; COMPUTE_PGM_RSRC2:TGID_X_EN: 1
; COMPUTE_PGM_RSRC2:TGID_Y_EN: 1
; COMPUTE_PGM_RSRC2:TGID_Z_EN: 1
; COMPUTE_PGM_RSRC2:TIDIG_COMP_CNT: 1
; COMPUTE_PGM_RSRC3_GFX90A:ACCUM_OFFSET: 3
; COMPUTE_PGM_RSRC3_GFX90A:TG_SPLIT: 0
	.section	.text._ZN9rocsolver6v33100L11gemm_kernelIdldPdS2_S2_EEvT0_S3_S3_T1_bT2_lS3_S3_lbT3_lS3_S3_lS4_T4_lS3_S3_l,"axG",@progbits,_ZN9rocsolver6v33100L11gemm_kernelIdldPdS2_S2_EEvT0_S3_S3_T1_bT2_lS3_S3_lbT3_lS3_S3_lS4_T4_lS3_S3_l,comdat
	.globl	_ZN9rocsolver6v33100L11gemm_kernelIdldPdS2_S2_EEvT0_S3_S3_T1_bT2_lS3_S3_lbT3_lS3_S3_lS4_T4_lS3_S3_l ; -- Begin function _ZN9rocsolver6v33100L11gemm_kernelIdldPdS2_S2_EEvT0_S3_S3_T1_bT2_lS3_S3_lbT3_lS3_S3_lS4_T4_lS3_S3_l
	.p2align	8
	.type	_ZN9rocsolver6v33100L11gemm_kernelIdldPdS2_S2_EEvT0_S3_S3_T1_bT2_lS3_S3_lbT3_lS3_S3_lS4_T4_lS3_S3_l,@function
_ZN9rocsolver6v33100L11gemm_kernelIdldPdS2_S2_EEvT0_S3_S3_T1_bT2_lS3_S3_lbT3_lS3_S3_lS4_T4_lS3_S3_l: ; @_ZN9rocsolver6v33100L11gemm_kernelIdldPdS2_S2_EEvT0_S3_S3_T1_bT2_lS3_S3_lbT3_lS3_S3_lS4_T4_lS3_S3_l
; %bb.0:
	s_load_dword s0, s[4:5], 0xbc
	s_load_dwordx8 s[24:31], s[4:5], 0x0
	v_and_b32_e32 v4, 0x3ff, v0
	v_mov_b32_e32 v5, 0
	v_mov_b32_e32 v1, s6
	s_waitcnt lgkmcnt(0)
	s_lshr_b32 s2, s0, 16
	s_and_b32 s0, s0, 0xffff
	v_mad_u64_u32 v[2:3], s[0:1], s0, v1, v[4:5]
	v_bfe_u32 v4, v0, 10, 10
	v_mov_b32_e32 v0, s7
	v_mad_u64_u32 v[0:1], s[0:1], s2, v0, v[4:5]
	v_cmp_gt_i64_e32 vcc, s[24:25], v[2:3]
	v_cmp_gt_i64_e64 s[0:1], s[26:27], v[0:1]
	s_and_b64 s[0:1], vcc, s[0:1]
	s_and_saveexec_b64 s[2:3], s[0:1]
	s_cbranch_execz .LBB36_6
; %bb.1:
	s_load_dwordx16 s[12:27], s[4:5], 0x58
	v_cmp_lt_i64_e64 s[0:1], s[28:29], 1
	s_and_b64 vcc, exec, s[0:1]
	s_cbranch_vccnz .LBB36_4
; %bb.2:
	s_load_dwordx2 s[0:1], s[4:5], 0x48
	s_load_dwordx8 s[36:43], s[4:5], 0x28
	s_waitcnt lgkmcnt(0)
	v_mul_lo_u32 v8, v1, s18
	v_mul_lo_u32 v9, v0, s19
	s_mul_i32 s1, s8, s1
	s_mul_hi_u32 s2, s8, s0
	s_mul_i32 s0, s8, s0
	s_add_i32 s1, s2, s1
	s_lshl_b64 s[0:1], s[0:1], 3
	s_add_u32 s2, s36, s0
	s_addc_u32 s3, s37, s1
	s_lshl_b64 s[0:1], s[38:39], 3
	s_add_u32 s2, s2, s0
	s_addc_u32 s3, s3, s1
	s_mul_i32 s0, s8, s21
	s_mul_hi_u32 s1, s8, s20
	s_add_i32 s1, s1, s0
	s_mul_i32 s0, s8, s20
	s_lshl_b64 s[0:1], s[0:1], 3
	s_add_u32 s6, s12, s0
	s_addc_u32 s7, s13, s1
	s_lshl_b64 s[0:1], s[14:15], 3
	s_add_u32 s6, s6, s0
	s_addc_u32 s7, s7, s1
	v_mul_lo_u32 v6, v3, s40
	v_mul_lo_u32 v7, v2, s41
	v_mad_u64_u32 v[4:5], s[0:1], v2, s40, 0
	v_add3_u32 v5, v5, v7, v6
	v_lshlrev_b64 v[4:5], 3, v[4:5]
	v_mov_b32_e32 v7, s3
	v_add_co_u32_e32 v6, vcc, s2, v4
	v_addc_co_u32_e32 v7, vcc, v7, v5, vcc
	v_mad_u64_u32 v[4:5], s[0:1], v0, s18, 0
	v_add3_u32 v5, v5, v9, v8
	v_lshlrev_b64 v[4:5], 3, v[4:5]
	v_mov_b32_e32 v9, s7
	v_add_co_u32_e32 v8, vcc, s6, v4
	s_lshl_b64 s[0:1], s[16:17], 3
	s_lshl_b64 s[2:3], s[42:43], 3
	v_addc_co_u32_e32 v9, vcc, v9, v5, vcc
	v_pk_mov_b32 v[4:5], 0, 0
	v_mov_b32_e32 v10, s1
	v_mov_b32_e32 v11, s3
.LBB36_3:                               ; =>This Inner Loop Header: Depth=1
	global_load_dwordx2 v[12:13], v[6:7], off
	global_load_dwordx2 v[14:15], v[8:9], off
	v_add_co_u32_e32 v8, vcc, s0, v8
	v_addc_co_u32_e32 v9, vcc, v9, v10, vcc
	s_add_u32 s28, s28, -1
	v_add_co_u32_e32 v6, vcc, s2, v6
	s_addc_u32 s29, s29, -1
	v_addc_co_u32_e32 v7, vcc, v7, v11, vcc
	s_cmp_eq_u64 s[28:29], 0
	s_waitcnt vmcnt(0)
	v_fmac_f64_e32 v[4:5], v[12:13], v[14:15]
	s_cbranch_scc0 .LBB36_3
	s_branch .LBB36_5
.LBB36_4:
	v_pk_mov_b32 v[4:5], 0, 0
.LBB36_5:
	s_load_dwordx2 s[6:7], s[4:5], 0xa8
	s_load_dwordx4 s[0:3], s[4:5], 0x98
	s_waitcnt lgkmcnt(0)
	s_mul_i32 s5, s8, s7
	s_mul_hi_u32 s7, s8, s6
	s_mul_i32 s4, s8, s6
	s_add_i32 s5, s7, s5
	s_lshl_b64 s[4:5], s[4:5], 3
	s_add_u32 s6, s24, s4
	s_addc_u32 s7, s25, s5
	s_lshl_b64 s[4:5], s[26:27], 3
	v_mul_lo_u32 v6, v3, s0
	v_mul_lo_u32 v7, v2, s1
	v_mad_u64_u32 v[2:3], s[0:1], v2, s0, 0
	s_add_u32 s4, s6, s4
	v_add3_u32 v3, v3, v7, v6
	s_addc_u32 s5, s7, s5
	v_mul_lo_u32 v6, v1, s2
	v_mul_lo_u32 v7, v0, s3
	v_mad_u64_u32 v[0:1], s[0:1], v0, s2, 0
	v_lshlrev_b64 v[2:3], 3, v[2:3]
	v_add3_u32 v1, v1, v7, v6
	v_mov_b32_e32 v6, s5
	v_add_co_u32_e32 v2, vcc, s4, v2
	v_addc_co_u32_e32 v3, vcc, v6, v3, vcc
	v_lshlrev_b64 v[0:1], 3, v[0:1]
	v_add_co_u32_e32 v0, vcc, v2, v0
	v_addc_co_u32_e32 v1, vcc, v3, v1, vcc
	global_load_dwordx2 v[2:3], v[0:1], off
	s_waitcnt vmcnt(0)
	v_mul_f64 v[2:3], v[2:3], s[22:23]
	v_fmac_f64_e32 v[2:3], s[30:31], v[4:5]
	global_store_dwordx2 v[0:1], v[2:3], off
.LBB36_6:
	s_endpgm
	.section	.rodata,"a",@progbits
	.p2align	6, 0x0
	.amdhsa_kernel _ZN9rocsolver6v33100L11gemm_kernelIdldPdS2_S2_EEvT0_S3_S3_T1_bT2_lS3_S3_lbT3_lS3_S3_lS4_T4_lS3_S3_l
		.amdhsa_group_segment_fixed_size 0
		.amdhsa_private_segment_fixed_size 0
		.amdhsa_kernarg_size 432
		.amdhsa_user_sgpr_count 6
		.amdhsa_user_sgpr_private_segment_buffer 1
		.amdhsa_user_sgpr_dispatch_ptr 0
		.amdhsa_user_sgpr_queue_ptr 0
		.amdhsa_user_sgpr_kernarg_segment_ptr 1
		.amdhsa_user_sgpr_dispatch_id 0
		.amdhsa_user_sgpr_flat_scratch_init 0
		.amdhsa_user_sgpr_kernarg_preload_length 0
		.amdhsa_user_sgpr_kernarg_preload_offset 0
		.amdhsa_user_sgpr_private_segment_size 0
		.amdhsa_uses_dynamic_stack 0
		.amdhsa_system_sgpr_private_segment_wavefront_offset 0
		.amdhsa_system_sgpr_workgroup_id_x 1
		.amdhsa_system_sgpr_workgroup_id_y 1
		.amdhsa_system_sgpr_workgroup_id_z 1
		.amdhsa_system_sgpr_workgroup_info 0
		.amdhsa_system_vgpr_workitem_id 1
		.amdhsa_next_free_vgpr 16
		.amdhsa_next_free_sgpr 44
		.amdhsa_accum_offset 16
		.amdhsa_reserve_vcc 1
		.amdhsa_reserve_flat_scratch 0
		.amdhsa_float_round_mode_32 0
		.amdhsa_float_round_mode_16_64 0
		.amdhsa_float_denorm_mode_32 3
		.amdhsa_float_denorm_mode_16_64 3
		.amdhsa_dx10_clamp 1
		.amdhsa_ieee_mode 1
		.amdhsa_fp16_overflow 0
		.amdhsa_tg_split 0
		.amdhsa_exception_fp_ieee_invalid_op 0
		.amdhsa_exception_fp_denorm_src 0
		.amdhsa_exception_fp_ieee_div_zero 0
		.amdhsa_exception_fp_ieee_overflow 0
		.amdhsa_exception_fp_ieee_underflow 0
		.amdhsa_exception_fp_ieee_inexact 0
		.amdhsa_exception_int_div_zero 0
	.end_amdhsa_kernel
	.section	.text._ZN9rocsolver6v33100L11gemm_kernelIdldPdS2_S2_EEvT0_S3_S3_T1_bT2_lS3_S3_lbT3_lS3_S3_lS4_T4_lS3_S3_l,"axG",@progbits,_ZN9rocsolver6v33100L11gemm_kernelIdldPdS2_S2_EEvT0_S3_S3_T1_bT2_lS3_S3_lbT3_lS3_S3_lS4_T4_lS3_S3_l,comdat
.Lfunc_end36:
	.size	_ZN9rocsolver6v33100L11gemm_kernelIdldPdS2_S2_EEvT0_S3_S3_T1_bT2_lS3_S3_lbT3_lS3_S3_lS4_T4_lS3_S3_l, .Lfunc_end36-_ZN9rocsolver6v33100L11gemm_kernelIdldPdS2_S2_EEvT0_S3_S3_T1_bT2_lS3_S3_lbT3_lS3_S3_lS4_T4_lS3_S3_l
                                        ; -- End function
	.section	.AMDGPU.csdata,"",@progbits
; Kernel info:
; codeLenInByte = 616
; NumSgprs: 48
; NumVgprs: 16
; NumAgprs: 0
; TotalNumVgprs: 16
; ScratchSize: 0
; MemoryBound: 0
; FloatMode: 240
; IeeeMode: 1
; LDSByteSize: 0 bytes/workgroup (compile time only)
; SGPRBlocks: 5
; VGPRBlocks: 1
; NumSGPRsForWavesPerEU: 48
; NumVGPRsForWavesPerEU: 16
; AccumOffset: 16
; Occupancy: 8
; WaveLimiterHint : 0
; COMPUTE_PGM_RSRC2:SCRATCH_EN: 0
; COMPUTE_PGM_RSRC2:USER_SGPR: 6
; COMPUTE_PGM_RSRC2:TRAP_HANDLER: 0
; COMPUTE_PGM_RSRC2:TGID_X_EN: 1
; COMPUTE_PGM_RSRC2:TGID_Y_EN: 1
; COMPUTE_PGM_RSRC2:TGID_Z_EN: 1
; COMPUTE_PGM_RSRC2:TIDIG_COMP_CNT: 1
; COMPUTE_PGM_RSRC3_GFX90A:ACCUM_OFFSET: 3
; COMPUTE_PGM_RSRC3_GFX90A:TG_SPLIT: 0
	.section	.text._ZN9rocsolver6v33100L16mfma_gemm_kernelIdlPKdPKPdS6_S6_EEv18rocblas_operation_S7_T0_S8_S8_T1_T2_lS8_S8_lT3_lS8_S8_lS9_T4_lS8_S8_l,"axG",@progbits,_ZN9rocsolver6v33100L16mfma_gemm_kernelIdlPKdPKPdS6_S6_EEv18rocblas_operation_S7_T0_S8_S8_T1_T2_lS8_S8_lT3_lS8_S8_lS9_T4_lS8_S8_l,comdat
	.globl	_ZN9rocsolver6v33100L16mfma_gemm_kernelIdlPKdPKPdS6_S6_EEv18rocblas_operation_S7_T0_S8_S8_T1_T2_lS8_S8_lT3_lS8_S8_lS9_T4_lS8_S8_l ; -- Begin function _ZN9rocsolver6v33100L16mfma_gemm_kernelIdlPKdPKPdS6_S6_EEv18rocblas_operation_S7_T0_S8_S8_T1_T2_lS8_S8_lT3_lS8_S8_lS9_T4_lS8_S8_l
	.p2align	8
	.type	_ZN9rocsolver6v33100L16mfma_gemm_kernelIdlPKdPKPdS6_S6_EEv18rocblas_operation_S7_T0_S8_S8_T1_T2_lS8_S8_lT3_lS8_S8_lS9_T4_lS8_S8_l,@function
_ZN9rocsolver6v33100L16mfma_gemm_kernelIdlPKdPKPdS6_S6_EEv18rocblas_operation_S7_T0_S8_S8_T1_T2_lS8_S8_lT3_lS8_S8_lS9_T4_lS8_S8_l: ; @_ZN9rocsolver6v33100L16mfma_gemm_kernelIdlPKdPKPdS6_S6_EEv18rocblas_operation_S7_T0_S8_S8_T1_T2_lS8_S8_lT3_lS8_S8_lS9_T4_lS8_S8_l
; %bb.0:
	s_load_dword s0, s[4:5], 0xb4
	s_load_dwordx16 s[12:27], s[4:5], 0x8
	v_and_b32_e32 v1, 0x3ff, v0
	v_lshrrev_b32_e32 v8, 6, v1
	v_mov_b32_e32 v9, 0
	s_waitcnt lgkmcnt(0)
	s_lshr_b32 s2, s0, 16
	s_bfe_u32 s0, s0, 0xa0006
	v_bfe_u32 v2, v0, 10, 10
	v_mov_b32_e32 v0, s6
	v_mov_b32_e32 v3, v9
	v_mad_u64_u32 v[22:23], s[0:1], s0, v0, v[8:9]
	v_mov_b32_e32 v0, s7
	v_mad_u64_u32 v[26:27], s[0:1], s2, v0, v[2:3]
	v_lshlrev_b64 v[12:13], 4, v[22:23]
	v_lshlrev_b64 v[14:15], 4, v[26:27]
	v_cmp_gt_i64_e32 vcc, s[12:13], v[12:13]
	v_cmp_gt_i64_e64 s[0:1], s[14:15], v[14:15]
	s_and_b64 s[0:1], vcc, s[0:1]
	s_and_saveexec_b64 s[2:3], s[0:1]
	s_cbranch_execz .LBB37_36
; %bb.1:
	s_load_dwordx8 s[36:43], s[4:5], 0x78
	s_load_dwordx2 s[34:35], s[4:5], 0x98
	v_add_co_u32_e32 v2, vcc, 16, v12
	v_addc_co_u32_e32 v3, vcc, 0, v13, vcc
	s_and_b32 s0, s12, 15
	s_mov_b32 s9, 0
	v_mov_b32_e32 v0, s0
	v_cmp_lt_u64_e32 vcc, s[12:13], v[2:3]
	s_and_b32 s0, s14, 15
	s_lshl_b64 s[2:3], s[8:9], 3
	v_cndmask_b32_e32 v8, 16, v0, vcc
	v_mov_b32_e32 v0, s0
	s_waitcnt lgkmcnt(0)
	s_add_u32 s0, s38, s2
	s_addc_u32 s1, s39, s3
	v_add_co_u32_e32 v2, vcc, 16, v14
	s_load_dwordx2 s[28:29], s[18:19], 0x0
	s_load_dwordx2 s[30:31], s[36:37], 0x0
	v_addc_co_u32_e32 v3, vcc, 0, v15, vcc
	s_load_dwordx2 s[18:19], s[0:1], 0x0
	v_cmp_lt_u64_e32 vcc, s[14:15], v[2:3]
	v_cndmask_b32_e32 v16, 16, v0, vcc
	v_mov_b32_e32 v17, v9
	v_bfe_u32 v18, v1, 2, 4
	v_mov_b32_e32 v19, v9
	v_cmp_lt_i64_e64 s[0:1], s[16:17], 1
	v_pk_mov_b32 v[6:7], 0, 0
	v_and_b32_e32 v21, 63, v1
	v_and_b32_e32 v10, 3, v1
	v_mov_b32_e32 v11, v9
	s_and_b64 vcc, exec, s[0:1]
	v_cmp_lt_u64_e64 s[0:1], v[18:19], v[16:17]
	v_mbcnt_lo_u32_b32 v34, -1, 0
	v_pk_mov_b32 v[4:5], v[6:7], v[6:7] op_sel:[0,1]
	v_pk_mov_b32 v[2:3], v[6:7], v[6:7] op_sel:[0,1]
	;; [unrolled: 1-line block ×3, first 2 shown]
	s_cbranch_vccnz .LBB37_28
; %bb.2:
	s_load_dwordx2 s[6:7], s[4:5], 0x0
	s_load_dwordx8 s[8:15], s[4:5], 0x50
	v_mov_b32_e32 v1, 0
	v_and_b32_e32 v0, 15, v21
	v_lshrrev_b32_e32 v20, 4, v21
	s_waitcnt lgkmcnt(0)
	s_cmpk_lg_i32 s6, 0x6f
	s_cselect_b64 s[36:37], -1, 0
	s_cmpk_lg_i32 s7, 0x6f
	s_cselect_b64 s[38:39], -1, 0
	s_add_u32 s4, s8, s2
	s_addc_u32 s5, s9, s3
	s_cmpk_eq_i32 s7, 0x6f
	s_cselect_b32 s33, s14, s12
	s_cselect_b32 s46, s15, s13
	s_add_u32 s2, s20, s2
	s_addc_u32 s3, s21, s3
	s_cmpk_eq_i32 s6, 0x6f
	s_cselect_b32 s20, s24, s26
	s_cselect_b32 s21, s25, s27
	s_load_dwordx2 s[44:45], s[4:5], 0x0
	s_load_dwordx2 s[8:9], s[2:3], 0x0
	v_cmp_lt_u64_e64 s[4:5], v[0:1], v[8:9]
	v_cmp_lt_u64_e64 s[6:7], v[0:1], v[16:17]
	v_mul_lo_u32 v1, s21, v22
	v_mul_lo_u32 v4, s20, v23
	v_mad_u64_u32 v[2:3], s[20:21], s20, v22, 0
	v_add3_u32 v3, v3, v4, v1
	v_mad_u64_u32 v[4:5], s[20:21], s26, v20, 0
	v_mov_b32_e32 v6, v5
	v_mad_u64_u32 v[6:7], s[20:21], s27, v20, v[6:7]
	v_mov_b32_e32 v5, v6
	v_lshlrev_b64 v[2:3], 7, v[2:3]
	v_lshlrev_b64 v[4:5], 3, v[4:5]
	v_add_co_u32_e32 v1, vcc, v2, v4
	v_addc_co_u32_e32 v22, vcc, v3, v5, vcc
	v_mad_u64_u32 v[4:5], s[20:21], s24, v0, 0
	v_mov_b32_e32 v6, v5
	v_mad_u64_u32 v[6:7], s[20:21], s25, v0, v[6:7]
	v_mov_b32_e32 v5, v6
	v_lshlrev_b64 v[4:5], 3, v[4:5]
	s_lshl_b64 s[20:21], s[22:23], 3
	v_add_co_u32_e32 v1, vcc, v1, v4
	s_waitcnt lgkmcnt(0)
	s_add_u32 s22, s8, s20
	v_addc_co_u32_e32 v4, vcc, v22, v5, vcc
	s_addc_u32 s23, s9, s21
	v_mov_b32_e32 v5, s23
	v_add_co_u32_e32 v22, vcc, s22, v1
	v_addc_co_u32_e32 v23, vcc, v5, v4, vcc
	v_mad_u64_u32 v[4:5], s[20:21], s26, v18, 0
	v_mov_b32_e32 v6, v5
	v_mad_u64_u32 v[6:7], s[20:21], s27, v18, v[6:7]
	v_mov_b32_e32 v5, v6
	v_lshlrev_b64 v[4:5], 3, v[4:5]
	v_add_co_u32_e32 v1, vcc, v2, v4
	v_addc_co_u32_e32 v6, vcc, v3, v5, vcc
	v_mad_u64_u32 v[2:3], s[20:21], s24, v10, 0
	v_mov_b32_e32 v4, v3
	v_mad_u64_u32 v[4:5], s[20:21], s25, v10, v[4:5]
	v_mov_b32_e32 v3, v4
	v_lshlrev_b64 v[2:3], 3, v[2:3]
	v_add_co_u32_e32 v1, vcc, v1, v2
	v_addc_co_u32_e32 v2, vcc, v6, v3, vcc
	v_mov_b32_e32 v3, s23
	v_add_co_u32_e32 v24, vcc, s22, v1
	v_addc_co_u32_e32 v25, vcc, v3, v2, vcc
	v_mul_lo_u32 v1, s46, v26
	v_mul_lo_u32 v4, s33, v27
	v_mad_u64_u32 v[2:3], s[22:23], s33, v26, 0
	v_add3_u32 v3, v3, v4, v1
	v_mad_u64_u32 v[4:5], s[22:23], s14, v18, 0
	v_mov_b32_e32 v6, v5
	v_mad_u64_u32 v[6:7], s[22:23], s15, v18, v[6:7]
	v_mov_b32_e32 v5, v6
	v_lshlrev_b64 v[2:3], 7, v[2:3]
	v_lshlrev_b64 v[4:5], 3, v[4:5]
	v_add_co_u32_e32 v1, vcc, v2, v4
	v_addc_co_u32_e32 v26, vcc, v3, v5, vcc
	v_mad_u64_u32 v[4:5], s[22:23], s12, v10, 0
	v_mov_b32_e32 v6, v5
	v_mad_u64_u32 v[6:7], s[22:23], s13, v10, v[6:7]
	v_mov_b32_e32 v5, v6
	s_lshl_b64 s[8:9], s[26:27], 5
	s_lshl_b64 s[20:21], s[24:25], 5
	v_lshlrev_b64 v[4:5], 3, v[4:5]
	s_lshl_b64 s[10:11], s[10:11], 3
	v_add_co_u32_e32 v1, vcc, v1, v4
	s_add_u32 s24, s44, s10
	v_addc_co_u32_e32 v4, vcc, v26, v5, vcc
	s_addc_u32 s25, s45, s11
	v_mov_b32_e32 v5, s25
	v_add_co_u32_e32 v26, vcc, s24, v1
	v_addc_co_u32_e32 v27, vcc, v5, v4, vcc
	v_mad_u64_u32 v[4:5], s[22:23], s14, v20, 0
	v_mov_b32_e32 v6, v5
	v_mad_u64_u32 v[6:7], s[22:23], s15, v20, v[6:7]
	v_mov_b32_e32 v5, v6
	v_lshlrev_b64 v[4:5], 3, v[4:5]
	v_add_co_u32_e32 v6, vcc, v2, v4
	v_addc_co_u32_e32 v5, vcc, v3, v5, vcc
	v_mad_u64_u32 v[2:3], s[22:23], s12, v0, 0
	v_mov_b32_e32 v4, v3
	v_lshl_or_b32 v30, v0, 2, v20
	s_lshl_b64 s[10:11], s[12:13], 5
	v_mad_u64_u32 v[0:1], s[12:13], s13, v0, v[4:5]
	v_mov_b32_e32 v3, v0
	v_lshlrev_b64 v[0:1], 3, v[2:3]
	v_add_co_u32_e32 v0, vcc, v6, v0
	v_addc_co_u32_e32 v1, vcc, v5, v1, vcc
	v_mov_b32_e32 v2, s25
	v_add_co_u32_e32 v28, vcc, s24, v0
	v_addc_co_u32_e32 v29, vcc, v2, v1, vcc
	v_mbcnt_hi_u32_b32 v2, -1, v34
	v_pk_mov_b32 v[0:1], 0, 0
	v_and_or_b32 v2, v2, 64, v30
	v_cmp_lt_u64_e64 s[2:3], v[18:19], v[8:9]
	s_lshl_b64 s[12:13], s[14:15], 5
	s_mov_b64 s[14:15], 0
	v_lshlrev_b32_e32 v35, 2, v2
	v_pk_mov_b32 v[2:3], v[0:1], v[0:1] op_sel:[0,1]
	v_pk_mov_b32 v[4:5], v[0:1], v[0:1] op_sel:[0,1]
	;; [unrolled: 1-line block ×3, first 2 shown]
	s_branch .LBB37_6
.LBB37_3:                               ;   in Loop: Header=BB37_6 Depth=1
	s_or_b64 exec, exec, s[24:25]
.LBB37_4:                               ;   in Loop: Header=BB37_6 Depth=1
	s_or_b64 exec, exec, s[22:23]
	s_waitcnt vmcnt(0)
	ds_bpermute_b32 v32, v35, v32
	ds_bpermute_b32 v33, v35, v33
.LBB37_5:                               ;   in Loop: Header=BB37_6 Depth=1
	v_mov_b32_e32 v36, s9
	v_add_co_u32_e32 v22, vcc, s8, v22
	v_addc_co_u32_e32 v23, vcc, v23, v36, vcc
	v_mov_b32_e32 v36, s21
	v_add_co_u32_e32 v24, vcc, s20, v24
	s_waitcnt vmcnt(0) lgkmcnt(0)
	v_mfma_f64_16x16x4f64 v[0:7], v[30:31], v[32:33], v[0:7]
	s_add_u32 s14, s14, 4
	s_addc_u32 s15, s15, 0
	v_addc_co_u32_e32 v25, vcc, v25, v36, vcc
	v_mov_b32_e32 v36, s11
	v_add_co_u32_e32 v26, vcc, s10, v26
	v_addc_co_u32_e32 v27, vcc, v27, v36, vcc
	v_mov_b32_e32 v30, s13
	v_add_co_u32_e32 v28, vcc, s12, v28
	v_addc_co_u32_e32 v29, vcc, v29, v30, vcc
	v_pk_mov_b32 v[30:31], s[16:17], s[16:17] op_sel:[0,1]
	v_cmp_ge_i64_e32 vcc, s[14:15], v[30:31]
	s_cbranch_vccnz .LBB37_28
.LBB37_6:                               ; =>This Inner Loop Header: Depth=1
	s_and_b64 vcc, exec, s[36:37]
	s_cbranch_vccz .LBB37_18
; %bb.7:                                ;   in Loop: Header=BB37_6 Depth=1
	v_pk_mov_b32 v[30:31], 0, 0
	s_and_saveexec_b64 s[22:23], s[2:3]
	s_cbranch_execz .LBB37_11
; %bb.8:                                ;   in Loop: Header=BB37_6 Depth=1
	v_mov_b32_e32 v31, s15
	v_add_co_u32_e32 v30, vcc, s14, v10
	v_addc_co_u32_e32 v31, vcc, 0, v31, vcc
	v_cmp_gt_i64_e32 vcc, s[16:17], v[30:31]
	v_pk_mov_b32 v[30:31], 0, 0
	s_and_saveexec_b64 s[24:25], vcc
	s_cbranch_execz .LBB37_10
; %bb.9:                                ;   in Loop: Header=BB37_6 Depth=1
	global_load_dwordx2 v[30:31], v[24:25], off
.LBB37_10:                              ;   in Loop: Header=BB37_6 Depth=1
	s_or_b64 exec, exec, s[24:25]
.LBB37_11:                              ;   in Loop: Header=BB37_6 Depth=1
	s_or_b64 exec, exec, s[22:23]
	s_waitcnt vmcnt(0)
	ds_bpermute_b32 v30, v35, v30
	ds_bpermute_b32 v31, v35, v31
.LBB37_12:                              ;   in Loop: Header=BB37_6 Depth=1
	s_and_b64 vcc, exec, s[38:39]
	s_cbranch_vccz .LBB37_24
.LBB37_13:                              ;   in Loop: Header=BB37_6 Depth=1
	v_pk_mov_b32 v[32:33], 0, 0
	s_and_saveexec_b64 s[22:23], s[6:7]
	s_cbranch_execz .LBB37_17
; %bb.14:                               ;   in Loop: Header=BB37_6 Depth=1
	v_mov_b32_e32 v33, s15
	v_add_co_u32_e32 v32, vcc, s14, v20
	v_addc_co_u32_e32 v33, vcc, 0, v33, vcc
	v_cmp_gt_i64_e32 vcc, s[16:17], v[32:33]
	v_pk_mov_b32 v[32:33], 0, 0
	s_and_saveexec_b64 s[24:25], vcc
	s_cbranch_execz .LBB37_16
; %bb.15:                               ;   in Loop: Header=BB37_6 Depth=1
	global_load_dwordx2 v[32:33], v[28:29], off
.LBB37_16:                              ;   in Loop: Header=BB37_6 Depth=1
	s_or_b64 exec, exec, s[24:25]
.LBB37_17:                              ;   in Loop: Header=BB37_6 Depth=1
	s_or_b64 exec, exec, s[22:23]
	s_cbranch_execnz .LBB37_5
	s_branch .LBB37_25
.LBB37_18:                              ;   in Loop: Header=BB37_6 Depth=1
                                        ; implicit-def: $vgpr30_vgpr31
	s_cbranch_execz .LBB37_12
; %bb.19:                               ;   in Loop: Header=BB37_6 Depth=1
	s_waitcnt lgkmcnt(0)
	v_pk_mov_b32 v[30:31], 0, 0
	s_and_saveexec_b64 s[22:23], s[4:5]
	s_cbranch_execz .LBB37_23
; %bb.20:                               ;   in Loop: Header=BB37_6 Depth=1
	v_mov_b32_e32 v31, s15
	v_add_co_u32_e32 v30, vcc, s14, v20
	v_addc_co_u32_e32 v31, vcc, 0, v31, vcc
	v_cmp_gt_i64_e32 vcc, s[16:17], v[30:31]
	v_pk_mov_b32 v[30:31], 0, 0
	s_and_saveexec_b64 s[24:25], vcc
	s_cbranch_execz .LBB37_22
; %bb.21:                               ;   in Loop: Header=BB37_6 Depth=1
	global_load_dwordx2 v[30:31], v[22:23], off
.LBB37_22:                              ;   in Loop: Header=BB37_6 Depth=1
	s_or_b64 exec, exec, s[24:25]
.LBB37_23:                              ;   in Loop: Header=BB37_6 Depth=1
	s_or_b64 exec, exec, s[22:23]
	s_and_b64 vcc, exec, s[38:39]
	s_cbranch_vccnz .LBB37_13
.LBB37_24:                              ;   in Loop: Header=BB37_6 Depth=1
                                        ; implicit-def: $vgpr32_vgpr33
.LBB37_25:                              ;   in Loop: Header=BB37_6 Depth=1
	s_waitcnt vmcnt(0)
	v_pk_mov_b32 v[32:33], 0, 0
	s_and_saveexec_b64 s[22:23], s[0:1]
	s_cbranch_execz .LBB37_4
; %bb.26:                               ;   in Loop: Header=BB37_6 Depth=1
	v_mov_b32_e32 v33, s15
	v_add_co_u32_e32 v32, vcc, s14, v10
	v_addc_co_u32_e32 v33, vcc, 0, v33, vcc
	v_cmp_gt_i64_e32 vcc, s[16:17], v[32:33]
	v_pk_mov_b32 v[32:33], 0, 0
	s_and_saveexec_b64 s[24:25], vcc
	s_cbranch_execz .LBB37_3
; %bb.27:                               ;   in Loop: Header=BB37_6 Depth=1
	global_load_dwordx2 v[32:33], v[26:27], off
	s_branch .LBB37_3
.LBB37_28:
	s_lshl_b64 s[0:1], s[40:41], 3
	s_waitcnt lgkmcnt(0)
	s_add_u32 s2, s18, s0
	s_addc_u32 s3, s19, s1
	v_mul_lo_u32 v20, v15, s34
	v_mul_lo_u32 v22, v14, s35
	v_mad_u64_u32 v[14:15], s[0:1], v14, s34, 0
	v_add3_u32 v15, v15, v22, v20
	v_mul_lo_u32 v20, v13, s42
	v_mul_lo_u32 v22, v12, s43
	v_mad_u64_u32 v[12:13], s[0:1], v12, s42, 0
	v_lshlrev_b64 v[14:15], 3, v[14:15]
	v_add3_u32 v13, v13, v22, v20
	v_mov_b32_e32 v20, s3
	v_add_co_u32_e32 v14, vcc, s2, v14
	v_addc_co_u32_e32 v15, vcc, v20, v15, vcc
	v_lshlrev_b64 v[12:13], 3, v[12:13]
	v_add_co_u32_e32 v20, vcc, v14, v12
	v_lshl_or_b32 v12, v21, 4, v18
	v_addc_co_u32_e32 v15, vcc, v15, v13, vcc
	v_mbcnt_hi_u32_b32 v13, -1, v34
	v_and_b32_e32 v12, 63, v12
	v_and_or_b32 v12, v13, 64, v12
	v_lshlrev_b32_e32 v14, 2, v12
	v_mad_u64_u32 v[12:13], s[0:1], v18, s34, 0
	v_cmp_lt_u64_e32 vcc, v[18:19], v[16:17]
	v_mov_b32_e32 v16, v13
	v_mad_u64_u32 v[16:17], s[0:1], v18, s35, v[16:17]
	v_mov_b32_e32 v13, v16
	v_lshlrev_b64 v[12:13], 3, v[12:13]
	ds_bpermute_b32 v0, v14, v0
	ds_bpermute_b32 v1, v14, v1
	v_add_co_u32_e64 v12, s[0:1], v20, v12
	v_addc_co_u32_e64 v13, s[0:1], v15, v13, s[0:1]
	v_cmp_lt_u64_e64 s[0:1], v[10:11], v[8:9]
	s_and_b64 s[0:1], vcc, s[0:1]
	s_and_saveexec_b64 s[2:3], s[0:1]
	s_cbranch_execz .LBB37_30
; %bb.29:
	v_mad_u64_u32 v[16:17], s[0:1], v10, s42, 0
	v_mov_b32_e32 v18, v17
	v_mad_u64_u32 v[18:19], s[0:1], v10, s43, v[18:19]
	v_mov_b32_e32 v17, v18
	v_lshlrev_b64 v[16:17], 3, v[16:17]
	v_add_co_u32_e64 v16, s[0:1], v12, v16
	v_addc_co_u32_e64 v17, s[0:1], v13, v17, s[0:1]
	global_load_dwordx2 v[18:19], v[16:17], off
	s_waitcnt vmcnt(0)
	v_mul_f64 v[18:19], s[30:31], v[18:19]
	s_waitcnt lgkmcnt(0)
	v_fmac_f64_e32 v[18:19], s[28:29], v[0:1]
	global_store_dwordx2 v[16:17], v[18:19], off
.LBB37_30:
	s_or_b64 exec, exec, s[2:3]
	s_waitcnt lgkmcnt(1)
	ds_bpermute_b32 v0, v14, v2
	s_waitcnt lgkmcnt(1)
	ds_bpermute_b32 v1, v14, v3
	v_or_b32_e32 v2, 4, v10
	v_mov_b32_e32 v3, v11
	v_cmp_lt_u64_e64 s[0:1], v[2:3], v[8:9]
	s_and_b64 s[0:1], vcc, s[0:1]
	s_and_saveexec_b64 s[2:3], s[0:1]
	s_cbranch_execz .LBB37_32
; %bb.31:
	v_mad_u64_u32 v[16:17], s[0:1], v2, s42, 0
	v_mov_b32_e32 v18, v17
	v_mad_u64_u32 v[2:3], s[0:1], v2, s43, v[18:19]
	v_mov_b32_e32 v17, v2
	v_lshlrev_b64 v[2:3], 3, v[16:17]
	v_add_co_u32_e64 v2, s[0:1], v12, v2
	v_addc_co_u32_e64 v3, s[0:1], v13, v3, s[0:1]
	global_load_dwordx2 v[16:17], v[2:3], off
	s_waitcnt vmcnt(0)
	v_mul_f64 v[16:17], s[30:31], v[16:17]
	s_waitcnt lgkmcnt(0)
	v_fmac_f64_e32 v[16:17], s[28:29], v[0:1]
	global_store_dwordx2 v[2:3], v[16:17], off
.LBB37_32:
	s_or_b64 exec, exec, s[2:3]
	s_waitcnt lgkmcnt(1)
	ds_bpermute_b32 v0, v14, v4
	s_waitcnt lgkmcnt(1)
	ds_bpermute_b32 v1, v14, v5
	v_or_b32_e32 v2, 8, v10
	v_mov_b32_e32 v3, v11
	v_cmp_lt_u64_e64 s[0:1], v[2:3], v[8:9]
	s_and_b64 s[0:1], vcc, s[0:1]
	s_and_saveexec_b64 s[2:3], s[0:1]
	s_cbranch_execz .LBB37_34
; %bb.33:
	v_mad_u64_u32 v[4:5], s[0:1], v2, s42, 0
	v_mov_b32_e32 v16, v5
	v_mad_u64_u32 v[2:3], s[0:1], v2, s43, v[16:17]
	v_mov_b32_e32 v5, v2
	v_lshlrev_b64 v[2:3], 3, v[4:5]
	v_add_co_u32_e64 v2, s[0:1], v12, v2
	v_addc_co_u32_e64 v3, s[0:1], v13, v3, s[0:1]
	global_load_dwordx2 v[4:5], v[2:3], off
	s_waitcnt vmcnt(0)
	v_mul_f64 v[4:5], s[30:31], v[4:5]
	s_waitcnt lgkmcnt(0)
	v_fmac_f64_e32 v[4:5], s[28:29], v[0:1]
	global_store_dwordx2 v[2:3], v[4:5], off
.LBB37_34:
	s_or_b64 exec, exec, s[2:3]
	s_waitcnt lgkmcnt(1)
	ds_bpermute_b32 v0, v14, v6
	s_waitcnt lgkmcnt(1)
	ds_bpermute_b32 v1, v14, v7
	v_or_b32_e32 v10, 12, v10
	v_cmp_lt_u64_e64 s[0:1], v[10:11], v[8:9]
	s_and_b64 s[0:1], vcc, s[0:1]
	s_and_b64 exec, exec, s[0:1]
	s_cbranch_execz .LBB37_36
; %bb.35:
	v_mad_u64_u32 v[2:3], s[0:1], v10, s42, 0
	v_mov_b32_e32 v4, v3
	v_mad_u64_u32 v[4:5], s[0:1], v10, s43, v[4:5]
	v_mov_b32_e32 v3, v4
	v_lshlrev_b64 v[2:3], 3, v[2:3]
	v_add_co_u32_e32 v2, vcc, v12, v2
	v_addc_co_u32_e32 v3, vcc, v13, v3, vcc
	global_load_dwordx2 v[4:5], v[2:3], off
	s_waitcnt vmcnt(0)
	v_mul_f64 v[4:5], s[30:31], v[4:5]
	s_waitcnt lgkmcnt(0)
	v_fmac_f64_e32 v[4:5], s[28:29], v[0:1]
	global_store_dwordx2 v[2:3], v[4:5], off
.LBB37_36:
	s_endpgm
	.section	.rodata,"a",@progbits
	.p2align	6, 0x0
	.amdhsa_kernel _ZN9rocsolver6v33100L16mfma_gemm_kernelIdlPKdPKPdS6_S6_EEv18rocblas_operation_S7_T0_S8_S8_T1_T2_lS8_S8_lT3_lS8_S8_lS9_T4_lS8_S8_l
		.amdhsa_group_segment_fixed_size 0
		.amdhsa_private_segment_fixed_size 0
		.amdhsa_kernarg_size 424
		.amdhsa_user_sgpr_count 6
		.amdhsa_user_sgpr_private_segment_buffer 1
		.amdhsa_user_sgpr_dispatch_ptr 0
		.amdhsa_user_sgpr_queue_ptr 0
		.amdhsa_user_sgpr_kernarg_segment_ptr 1
		.amdhsa_user_sgpr_dispatch_id 0
		.amdhsa_user_sgpr_flat_scratch_init 0
		.amdhsa_user_sgpr_kernarg_preload_length 0
		.amdhsa_user_sgpr_kernarg_preload_offset 0
		.amdhsa_user_sgpr_private_segment_size 0
		.amdhsa_uses_dynamic_stack 0
		.amdhsa_system_sgpr_private_segment_wavefront_offset 0
		.amdhsa_system_sgpr_workgroup_id_x 1
		.amdhsa_system_sgpr_workgroup_id_y 1
		.amdhsa_system_sgpr_workgroup_id_z 1
		.amdhsa_system_sgpr_workgroup_info 0
		.amdhsa_system_vgpr_workitem_id 1
		.amdhsa_next_free_vgpr 37
		.amdhsa_next_free_sgpr 47
		.amdhsa_accum_offset 40
		.amdhsa_reserve_vcc 1
		.amdhsa_reserve_flat_scratch 0
		.amdhsa_float_round_mode_32 0
		.amdhsa_float_round_mode_16_64 0
		.amdhsa_float_denorm_mode_32 3
		.amdhsa_float_denorm_mode_16_64 3
		.amdhsa_dx10_clamp 1
		.amdhsa_ieee_mode 1
		.amdhsa_fp16_overflow 0
		.amdhsa_tg_split 0
		.amdhsa_exception_fp_ieee_invalid_op 0
		.amdhsa_exception_fp_denorm_src 0
		.amdhsa_exception_fp_ieee_div_zero 0
		.amdhsa_exception_fp_ieee_overflow 0
		.amdhsa_exception_fp_ieee_underflow 0
		.amdhsa_exception_fp_ieee_inexact 0
		.amdhsa_exception_int_div_zero 0
	.end_amdhsa_kernel
	.section	.text._ZN9rocsolver6v33100L16mfma_gemm_kernelIdlPKdPKPdS6_S6_EEv18rocblas_operation_S7_T0_S8_S8_T1_T2_lS8_S8_lT3_lS8_S8_lS9_T4_lS8_S8_l,"axG",@progbits,_ZN9rocsolver6v33100L16mfma_gemm_kernelIdlPKdPKPdS6_S6_EEv18rocblas_operation_S7_T0_S8_S8_T1_T2_lS8_S8_lT3_lS8_S8_lS9_T4_lS8_S8_l,comdat
.Lfunc_end37:
	.size	_ZN9rocsolver6v33100L16mfma_gemm_kernelIdlPKdPKPdS6_S6_EEv18rocblas_operation_S7_T0_S8_S8_T1_T2_lS8_S8_lT3_lS8_S8_lS9_T4_lS8_S8_l, .Lfunc_end37-_ZN9rocsolver6v33100L16mfma_gemm_kernelIdlPKdPKPdS6_S6_EEv18rocblas_operation_S7_T0_S8_S8_T1_T2_lS8_S8_lT3_lS8_S8_lS9_T4_lS8_S8_l
                                        ; -- End function
	.section	.AMDGPU.csdata,"",@progbits
; Kernel info:
; codeLenInByte = 2172
; NumSgprs: 51
; NumVgprs: 37
; NumAgprs: 0
; TotalNumVgprs: 37
; ScratchSize: 0
; MemoryBound: 0
; FloatMode: 240
; IeeeMode: 1
; LDSByteSize: 0 bytes/workgroup (compile time only)
; SGPRBlocks: 6
; VGPRBlocks: 4
; NumSGPRsForWavesPerEU: 51
; NumVGPRsForWavesPerEU: 37
; AccumOffset: 40
; Occupancy: 8
; WaveLimiterHint : 1
; COMPUTE_PGM_RSRC2:SCRATCH_EN: 0
; COMPUTE_PGM_RSRC2:USER_SGPR: 6
; COMPUTE_PGM_RSRC2:TRAP_HANDLER: 0
; COMPUTE_PGM_RSRC2:TGID_X_EN: 1
; COMPUTE_PGM_RSRC2:TGID_Y_EN: 1
; COMPUTE_PGM_RSRC2:TGID_Z_EN: 1
; COMPUTE_PGM_RSRC2:TIDIG_COMP_CNT: 1
; COMPUTE_PGM_RSRC3_GFX90A:ACCUM_OFFSET: 9
; COMPUTE_PGM_RSRC3_GFX90A:TG_SPLIT: 0
	.section	.text._ZN9rocsolver6v33100L16mfma_gemm_kernelIdldPKPdS4_S4_EEv18rocblas_operation_S5_T0_S6_S6_T1_T2_lS6_S6_lT3_lS6_S6_lS7_T4_lS6_S6_l,"axG",@progbits,_ZN9rocsolver6v33100L16mfma_gemm_kernelIdldPKPdS4_S4_EEv18rocblas_operation_S5_T0_S6_S6_T1_T2_lS6_S6_lT3_lS6_S6_lS7_T4_lS6_S6_l,comdat
	.globl	_ZN9rocsolver6v33100L16mfma_gemm_kernelIdldPKPdS4_S4_EEv18rocblas_operation_S5_T0_S6_S6_T1_T2_lS6_S6_lT3_lS6_S6_lS7_T4_lS6_S6_l ; -- Begin function _ZN9rocsolver6v33100L16mfma_gemm_kernelIdldPKPdS4_S4_EEv18rocblas_operation_S5_T0_S6_S6_T1_T2_lS6_S6_lT3_lS6_S6_lS7_T4_lS6_S6_l
	.p2align	8
	.type	_ZN9rocsolver6v33100L16mfma_gemm_kernelIdldPKPdS4_S4_EEv18rocblas_operation_S5_T0_S6_S6_T1_T2_lS6_S6_lT3_lS6_S6_lS7_T4_lS6_S6_l,@function
_ZN9rocsolver6v33100L16mfma_gemm_kernelIdldPKPdS4_S4_EEv18rocblas_operation_S5_T0_S6_S6_T1_T2_lS6_S6_lT3_lS6_S6_lS7_T4_lS6_S6_l: ; @_ZN9rocsolver6v33100L16mfma_gemm_kernelIdldPKPdS4_S4_EEv18rocblas_operation_S5_T0_S6_S6_T1_T2_lS6_S6_lT3_lS6_S6_lS7_T4_lS6_S6_l
; %bb.0:
	s_load_dword s0, s[4:5], 0xb4
	s_load_dwordx16 s[12:27], s[4:5], 0x8
	v_and_b32_e32 v1, 0x3ff, v0
	v_lshrrev_b32_e32 v8, 6, v1
	v_mov_b32_e32 v9, 0
	s_waitcnt lgkmcnt(0)
	s_lshr_b32 s2, s0, 16
	s_bfe_u32 s0, s0, 0xa0006
	v_bfe_u32 v2, v0, 10, 10
	v_mov_b32_e32 v0, s6
	v_mov_b32_e32 v3, v9
	v_mad_u64_u32 v[22:23], s[0:1], s0, v0, v[8:9]
	v_mov_b32_e32 v0, s7
	v_mad_u64_u32 v[26:27], s[0:1], s2, v0, v[2:3]
	v_lshlrev_b64 v[12:13], 4, v[22:23]
	v_lshlrev_b64 v[14:15], 4, v[26:27]
	v_cmp_gt_i64_e32 vcc, s[12:13], v[12:13]
	v_cmp_gt_i64_e64 s[0:1], s[14:15], v[14:15]
	s_and_b64 s[0:1], vcc, s[0:1]
	s_and_saveexec_b64 s[2:3], s[0:1]
	s_cbranch_execz .LBB38_36
; %bb.1:
	s_load_dwordx8 s[36:43], s[4:5], 0x78
	s_load_dwordx2 s[28:29], s[4:5], 0x98
	v_add_co_u32_e32 v2, vcc, 16, v12
	v_addc_co_u32_e32 v3, vcc, 0, v13, vcc
	s_and_b32 s0, s12, 15
	s_mov_b32 s9, 0
	v_mov_b32_e32 v0, s0
	v_cmp_lt_u64_e32 vcc, s[12:13], v[2:3]
	s_and_b32 s0, s14, 15
	s_lshl_b64 s[2:3], s[8:9], 3
	v_cndmask_b32_e32 v8, 16, v0, vcc
	v_mov_b32_e32 v0, s0
	s_waitcnt lgkmcnt(0)
	s_add_u32 s0, s38, s2
	s_addc_u32 s1, s39, s3
	v_add_co_u32_e32 v2, vcc, 16, v14
	s_load_dwordx2 s[30:31], s[0:1], 0x0
	v_addc_co_u32_e32 v3, vcc, 0, v15, vcc
	v_cmp_lt_u64_e32 vcc, s[14:15], v[2:3]
	v_cndmask_b32_e32 v16, 16, v0, vcc
	v_mov_b32_e32 v17, v9
	v_bfe_u32 v18, v1, 2, 4
	v_mov_b32_e32 v19, v9
	v_cmp_lt_i64_e64 s[0:1], s[16:17], 1
	v_pk_mov_b32 v[6:7], 0, 0
	v_and_b32_e32 v21, 63, v1
	v_and_b32_e32 v10, 3, v1
	v_mov_b32_e32 v11, v9
	s_and_b64 vcc, exec, s[0:1]
	v_cmp_lt_u64_e64 s[0:1], v[18:19], v[16:17]
	v_mbcnt_lo_u32_b32 v34, -1, 0
	v_pk_mov_b32 v[4:5], v[6:7], v[6:7] op_sel:[0,1]
	v_pk_mov_b32 v[2:3], v[6:7], v[6:7] op_sel:[0,1]
	;; [unrolled: 1-line block ×3, first 2 shown]
	s_cbranch_vccnz .LBB38_28
; %bb.2:
	s_load_dwordx2 s[6:7], s[4:5], 0x0
	s_load_dwordx8 s[8:15], s[4:5], 0x50
	v_mov_b32_e32 v1, 0
	v_and_b32_e32 v0, 15, v21
	v_lshrrev_b32_e32 v20, 4, v21
	s_waitcnt lgkmcnt(0)
	s_cmpk_lg_i32 s6, 0x6f
	s_cselect_b64 s[34:35], -1, 0
	s_cmpk_lg_i32 s7, 0x6f
	s_cselect_b64 s[38:39], -1, 0
	s_add_u32 s4, s8, s2
	s_addc_u32 s5, s9, s3
	s_cmpk_eq_i32 s7, 0x6f
	s_cselect_b32 s33, s14, s12
	s_cselect_b32 s46, s15, s13
	s_add_u32 s2, s20, s2
	s_addc_u32 s3, s21, s3
	s_cmpk_eq_i32 s6, 0x6f
	s_cselect_b32 s20, s24, s26
	s_cselect_b32 s21, s25, s27
	s_load_dwordx2 s[44:45], s[4:5], 0x0
	s_load_dwordx2 s[8:9], s[2:3], 0x0
	v_cmp_lt_u64_e64 s[4:5], v[0:1], v[8:9]
	v_cmp_lt_u64_e64 s[6:7], v[0:1], v[16:17]
	v_mul_lo_u32 v1, s21, v22
	v_mul_lo_u32 v4, s20, v23
	v_mad_u64_u32 v[2:3], s[20:21], s20, v22, 0
	v_add3_u32 v3, v3, v4, v1
	v_mad_u64_u32 v[4:5], s[20:21], s26, v20, 0
	v_mov_b32_e32 v6, v5
	v_mad_u64_u32 v[6:7], s[20:21], s27, v20, v[6:7]
	v_mov_b32_e32 v5, v6
	v_lshlrev_b64 v[2:3], 7, v[2:3]
	v_lshlrev_b64 v[4:5], 3, v[4:5]
	v_add_co_u32_e32 v1, vcc, v2, v4
	v_addc_co_u32_e32 v22, vcc, v3, v5, vcc
	v_mad_u64_u32 v[4:5], s[20:21], s24, v0, 0
	v_mov_b32_e32 v6, v5
	v_mad_u64_u32 v[6:7], s[20:21], s25, v0, v[6:7]
	v_mov_b32_e32 v5, v6
	v_lshlrev_b64 v[4:5], 3, v[4:5]
	s_lshl_b64 s[20:21], s[22:23], 3
	v_add_co_u32_e32 v1, vcc, v1, v4
	s_waitcnt lgkmcnt(0)
	s_add_u32 s22, s8, s20
	v_addc_co_u32_e32 v4, vcc, v22, v5, vcc
	s_addc_u32 s23, s9, s21
	v_mov_b32_e32 v5, s23
	v_add_co_u32_e32 v22, vcc, s22, v1
	v_addc_co_u32_e32 v23, vcc, v5, v4, vcc
	v_mad_u64_u32 v[4:5], s[20:21], s26, v18, 0
	v_mov_b32_e32 v6, v5
	v_mad_u64_u32 v[6:7], s[20:21], s27, v18, v[6:7]
	v_mov_b32_e32 v5, v6
	v_lshlrev_b64 v[4:5], 3, v[4:5]
	v_add_co_u32_e32 v1, vcc, v2, v4
	v_addc_co_u32_e32 v6, vcc, v3, v5, vcc
	v_mad_u64_u32 v[2:3], s[20:21], s24, v10, 0
	v_mov_b32_e32 v4, v3
	v_mad_u64_u32 v[4:5], s[20:21], s25, v10, v[4:5]
	v_mov_b32_e32 v3, v4
	v_lshlrev_b64 v[2:3], 3, v[2:3]
	v_add_co_u32_e32 v1, vcc, v1, v2
	v_addc_co_u32_e32 v2, vcc, v6, v3, vcc
	v_mov_b32_e32 v3, s23
	v_add_co_u32_e32 v24, vcc, s22, v1
	v_addc_co_u32_e32 v25, vcc, v3, v2, vcc
	v_mul_lo_u32 v1, s46, v26
	v_mul_lo_u32 v4, s33, v27
	v_mad_u64_u32 v[2:3], s[22:23], s33, v26, 0
	v_add3_u32 v3, v3, v4, v1
	v_mad_u64_u32 v[4:5], s[22:23], s14, v18, 0
	v_mov_b32_e32 v6, v5
	v_mad_u64_u32 v[6:7], s[22:23], s15, v18, v[6:7]
	v_mov_b32_e32 v5, v6
	v_lshlrev_b64 v[2:3], 7, v[2:3]
	v_lshlrev_b64 v[4:5], 3, v[4:5]
	v_add_co_u32_e32 v1, vcc, v2, v4
	v_addc_co_u32_e32 v26, vcc, v3, v5, vcc
	v_mad_u64_u32 v[4:5], s[22:23], s12, v10, 0
	v_mov_b32_e32 v6, v5
	v_mad_u64_u32 v[6:7], s[22:23], s13, v10, v[6:7]
	v_mov_b32_e32 v5, v6
	s_lshl_b64 s[8:9], s[26:27], 5
	s_lshl_b64 s[20:21], s[24:25], 5
	v_lshlrev_b64 v[4:5], 3, v[4:5]
	s_lshl_b64 s[10:11], s[10:11], 3
	v_add_co_u32_e32 v1, vcc, v1, v4
	s_add_u32 s24, s44, s10
	v_addc_co_u32_e32 v4, vcc, v26, v5, vcc
	s_addc_u32 s25, s45, s11
	v_mov_b32_e32 v5, s25
	v_add_co_u32_e32 v26, vcc, s24, v1
	v_addc_co_u32_e32 v27, vcc, v5, v4, vcc
	v_mad_u64_u32 v[4:5], s[22:23], s14, v20, 0
	v_mov_b32_e32 v6, v5
	v_mad_u64_u32 v[6:7], s[22:23], s15, v20, v[6:7]
	v_mov_b32_e32 v5, v6
	v_lshlrev_b64 v[4:5], 3, v[4:5]
	v_add_co_u32_e32 v6, vcc, v2, v4
	v_addc_co_u32_e32 v5, vcc, v3, v5, vcc
	v_mad_u64_u32 v[2:3], s[22:23], s12, v0, 0
	v_mov_b32_e32 v4, v3
	v_lshl_or_b32 v30, v0, 2, v20
	s_lshl_b64 s[10:11], s[12:13], 5
	v_mad_u64_u32 v[0:1], s[12:13], s13, v0, v[4:5]
	v_mov_b32_e32 v3, v0
	v_lshlrev_b64 v[0:1], 3, v[2:3]
	v_add_co_u32_e32 v0, vcc, v6, v0
	v_addc_co_u32_e32 v1, vcc, v5, v1, vcc
	v_mov_b32_e32 v2, s25
	v_add_co_u32_e32 v28, vcc, s24, v0
	v_addc_co_u32_e32 v29, vcc, v2, v1, vcc
	v_mbcnt_hi_u32_b32 v2, -1, v34
	v_pk_mov_b32 v[0:1], 0, 0
	v_and_or_b32 v2, v2, 64, v30
	v_cmp_lt_u64_e64 s[2:3], v[18:19], v[8:9]
	s_lshl_b64 s[12:13], s[14:15], 5
	s_mov_b64 s[14:15], 0
	v_lshlrev_b32_e32 v35, 2, v2
	v_pk_mov_b32 v[2:3], v[0:1], v[0:1] op_sel:[0,1]
	v_pk_mov_b32 v[4:5], v[0:1], v[0:1] op_sel:[0,1]
	v_pk_mov_b32 v[6:7], v[0:1], v[0:1] op_sel:[0,1]
	s_branch .LBB38_6
.LBB38_3:                               ;   in Loop: Header=BB38_6 Depth=1
	s_or_b64 exec, exec, s[24:25]
.LBB38_4:                               ;   in Loop: Header=BB38_6 Depth=1
	s_or_b64 exec, exec, s[22:23]
	s_waitcnt vmcnt(0)
	ds_bpermute_b32 v32, v35, v32
	ds_bpermute_b32 v33, v35, v33
.LBB38_5:                               ;   in Loop: Header=BB38_6 Depth=1
	v_mov_b32_e32 v36, s9
	v_add_co_u32_e32 v22, vcc, s8, v22
	v_addc_co_u32_e32 v23, vcc, v23, v36, vcc
	v_mov_b32_e32 v36, s21
	v_add_co_u32_e32 v24, vcc, s20, v24
	s_waitcnt vmcnt(0) lgkmcnt(0)
	v_mfma_f64_16x16x4f64 v[0:7], v[30:31], v[32:33], v[0:7]
	s_add_u32 s14, s14, 4
	s_addc_u32 s15, s15, 0
	v_addc_co_u32_e32 v25, vcc, v25, v36, vcc
	v_mov_b32_e32 v36, s11
	v_add_co_u32_e32 v26, vcc, s10, v26
	v_addc_co_u32_e32 v27, vcc, v27, v36, vcc
	v_mov_b32_e32 v30, s13
	v_add_co_u32_e32 v28, vcc, s12, v28
	v_addc_co_u32_e32 v29, vcc, v29, v30, vcc
	v_pk_mov_b32 v[30:31], s[16:17], s[16:17] op_sel:[0,1]
	v_cmp_ge_i64_e32 vcc, s[14:15], v[30:31]
	s_cbranch_vccnz .LBB38_28
.LBB38_6:                               ; =>This Inner Loop Header: Depth=1
	s_and_b64 vcc, exec, s[34:35]
	s_cbranch_vccz .LBB38_18
; %bb.7:                                ;   in Loop: Header=BB38_6 Depth=1
	v_pk_mov_b32 v[30:31], 0, 0
	s_and_saveexec_b64 s[22:23], s[2:3]
	s_cbranch_execz .LBB38_11
; %bb.8:                                ;   in Loop: Header=BB38_6 Depth=1
	v_mov_b32_e32 v31, s15
	v_add_co_u32_e32 v30, vcc, s14, v10
	v_addc_co_u32_e32 v31, vcc, 0, v31, vcc
	v_cmp_gt_i64_e32 vcc, s[16:17], v[30:31]
	v_pk_mov_b32 v[30:31], 0, 0
	s_and_saveexec_b64 s[24:25], vcc
	s_cbranch_execz .LBB38_10
; %bb.9:                                ;   in Loop: Header=BB38_6 Depth=1
	global_load_dwordx2 v[30:31], v[24:25], off
.LBB38_10:                              ;   in Loop: Header=BB38_6 Depth=1
	s_or_b64 exec, exec, s[24:25]
.LBB38_11:                              ;   in Loop: Header=BB38_6 Depth=1
	s_or_b64 exec, exec, s[22:23]
	s_waitcnt vmcnt(0)
	ds_bpermute_b32 v30, v35, v30
	ds_bpermute_b32 v31, v35, v31
.LBB38_12:                              ;   in Loop: Header=BB38_6 Depth=1
	s_and_b64 vcc, exec, s[38:39]
	s_cbranch_vccz .LBB38_24
.LBB38_13:                              ;   in Loop: Header=BB38_6 Depth=1
	v_pk_mov_b32 v[32:33], 0, 0
	s_and_saveexec_b64 s[22:23], s[6:7]
	s_cbranch_execz .LBB38_17
; %bb.14:                               ;   in Loop: Header=BB38_6 Depth=1
	v_mov_b32_e32 v33, s15
	v_add_co_u32_e32 v32, vcc, s14, v20
	v_addc_co_u32_e32 v33, vcc, 0, v33, vcc
	v_cmp_gt_i64_e32 vcc, s[16:17], v[32:33]
	v_pk_mov_b32 v[32:33], 0, 0
	s_and_saveexec_b64 s[24:25], vcc
	s_cbranch_execz .LBB38_16
; %bb.15:                               ;   in Loop: Header=BB38_6 Depth=1
	global_load_dwordx2 v[32:33], v[28:29], off
.LBB38_16:                              ;   in Loop: Header=BB38_6 Depth=1
	s_or_b64 exec, exec, s[24:25]
.LBB38_17:                              ;   in Loop: Header=BB38_6 Depth=1
	s_or_b64 exec, exec, s[22:23]
	s_cbranch_execnz .LBB38_5
	s_branch .LBB38_25
.LBB38_18:                              ;   in Loop: Header=BB38_6 Depth=1
                                        ; implicit-def: $vgpr30_vgpr31
	s_cbranch_execz .LBB38_12
; %bb.19:                               ;   in Loop: Header=BB38_6 Depth=1
	s_waitcnt lgkmcnt(0)
	v_pk_mov_b32 v[30:31], 0, 0
	s_and_saveexec_b64 s[22:23], s[4:5]
	s_cbranch_execz .LBB38_23
; %bb.20:                               ;   in Loop: Header=BB38_6 Depth=1
	v_mov_b32_e32 v31, s15
	v_add_co_u32_e32 v30, vcc, s14, v20
	v_addc_co_u32_e32 v31, vcc, 0, v31, vcc
	v_cmp_gt_i64_e32 vcc, s[16:17], v[30:31]
	v_pk_mov_b32 v[30:31], 0, 0
	s_and_saveexec_b64 s[24:25], vcc
	s_cbranch_execz .LBB38_22
; %bb.21:                               ;   in Loop: Header=BB38_6 Depth=1
	global_load_dwordx2 v[30:31], v[22:23], off
.LBB38_22:                              ;   in Loop: Header=BB38_6 Depth=1
	s_or_b64 exec, exec, s[24:25]
.LBB38_23:                              ;   in Loop: Header=BB38_6 Depth=1
	s_or_b64 exec, exec, s[22:23]
	s_and_b64 vcc, exec, s[38:39]
	s_cbranch_vccnz .LBB38_13
.LBB38_24:                              ;   in Loop: Header=BB38_6 Depth=1
                                        ; implicit-def: $vgpr32_vgpr33
.LBB38_25:                              ;   in Loop: Header=BB38_6 Depth=1
	s_waitcnt vmcnt(0)
	v_pk_mov_b32 v[32:33], 0, 0
	s_and_saveexec_b64 s[22:23], s[0:1]
	s_cbranch_execz .LBB38_4
; %bb.26:                               ;   in Loop: Header=BB38_6 Depth=1
	v_mov_b32_e32 v33, s15
	v_add_co_u32_e32 v32, vcc, s14, v10
	v_addc_co_u32_e32 v33, vcc, 0, v33, vcc
	v_cmp_gt_i64_e32 vcc, s[16:17], v[32:33]
	v_pk_mov_b32 v[32:33], 0, 0
	s_and_saveexec_b64 s[24:25], vcc
	s_cbranch_execz .LBB38_3
; %bb.27:                               ;   in Loop: Header=BB38_6 Depth=1
	global_load_dwordx2 v[32:33], v[26:27], off
	s_branch .LBB38_3
.LBB38_28:
	s_lshl_b64 s[0:1], s[40:41], 3
	s_waitcnt lgkmcnt(0)
	s_add_u32 s2, s30, s0
	s_addc_u32 s3, s31, s1
	v_mul_lo_u32 v20, v15, s28
	v_mul_lo_u32 v22, v14, s29
	v_mad_u64_u32 v[14:15], s[0:1], v14, s28, 0
	v_add3_u32 v15, v15, v22, v20
	v_mul_lo_u32 v20, v13, s42
	v_mul_lo_u32 v22, v12, s43
	v_mad_u64_u32 v[12:13], s[0:1], v12, s42, 0
	v_lshlrev_b64 v[14:15], 3, v[14:15]
	v_add3_u32 v13, v13, v22, v20
	v_mov_b32_e32 v20, s3
	v_add_co_u32_e32 v14, vcc, s2, v14
	v_addc_co_u32_e32 v15, vcc, v20, v15, vcc
	v_lshlrev_b64 v[12:13], 3, v[12:13]
	v_add_co_u32_e32 v20, vcc, v14, v12
	v_lshl_or_b32 v12, v21, 4, v18
	v_addc_co_u32_e32 v15, vcc, v15, v13, vcc
	v_mbcnt_hi_u32_b32 v13, -1, v34
	v_and_b32_e32 v12, 63, v12
	v_and_or_b32 v12, v13, 64, v12
	v_lshlrev_b32_e32 v14, 2, v12
	v_mad_u64_u32 v[12:13], s[0:1], v18, s28, 0
	v_cmp_lt_u64_e32 vcc, v[18:19], v[16:17]
	v_mov_b32_e32 v16, v13
	v_mad_u64_u32 v[16:17], s[0:1], v18, s29, v[16:17]
	v_mov_b32_e32 v13, v16
	v_lshlrev_b64 v[12:13], 3, v[12:13]
	ds_bpermute_b32 v0, v14, v0
	ds_bpermute_b32 v1, v14, v1
	v_add_co_u32_e64 v12, s[0:1], v20, v12
	v_addc_co_u32_e64 v13, s[0:1], v15, v13, s[0:1]
	v_cmp_lt_u64_e64 s[0:1], v[10:11], v[8:9]
	s_and_b64 s[0:1], vcc, s[0:1]
	s_and_saveexec_b64 s[2:3], s[0:1]
	s_cbranch_execz .LBB38_30
; %bb.29:
	v_mad_u64_u32 v[16:17], s[0:1], v10, s42, 0
	v_mov_b32_e32 v18, v17
	v_mad_u64_u32 v[18:19], s[0:1], v10, s43, v[18:19]
	v_mov_b32_e32 v17, v18
	v_lshlrev_b64 v[16:17], 3, v[16:17]
	v_add_co_u32_e64 v16, s[0:1], v12, v16
	v_addc_co_u32_e64 v17, s[0:1], v13, v17, s[0:1]
	global_load_dwordx2 v[18:19], v[16:17], off
	s_waitcnt vmcnt(0)
	v_mul_f64 v[18:19], v[18:19], s[36:37]
	s_waitcnt lgkmcnt(0)
	v_fmac_f64_e32 v[18:19], s[18:19], v[0:1]
	global_store_dwordx2 v[16:17], v[18:19], off
.LBB38_30:
	s_or_b64 exec, exec, s[2:3]
	s_waitcnt lgkmcnt(1)
	ds_bpermute_b32 v0, v14, v2
	s_waitcnt lgkmcnt(1)
	ds_bpermute_b32 v1, v14, v3
	v_or_b32_e32 v2, 4, v10
	v_mov_b32_e32 v3, v11
	v_cmp_lt_u64_e64 s[0:1], v[2:3], v[8:9]
	s_and_b64 s[0:1], vcc, s[0:1]
	s_and_saveexec_b64 s[2:3], s[0:1]
	s_cbranch_execz .LBB38_32
; %bb.31:
	v_mad_u64_u32 v[16:17], s[0:1], v2, s42, 0
	v_mov_b32_e32 v18, v17
	v_mad_u64_u32 v[2:3], s[0:1], v2, s43, v[18:19]
	v_mov_b32_e32 v17, v2
	v_lshlrev_b64 v[2:3], 3, v[16:17]
	v_add_co_u32_e64 v2, s[0:1], v12, v2
	v_addc_co_u32_e64 v3, s[0:1], v13, v3, s[0:1]
	global_load_dwordx2 v[16:17], v[2:3], off
	s_waitcnt vmcnt(0)
	v_mul_f64 v[16:17], v[16:17], s[36:37]
	s_waitcnt lgkmcnt(0)
	v_fmac_f64_e32 v[16:17], s[18:19], v[0:1]
	global_store_dwordx2 v[2:3], v[16:17], off
.LBB38_32:
	s_or_b64 exec, exec, s[2:3]
	s_waitcnt lgkmcnt(1)
	ds_bpermute_b32 v0, v14, v4
	s_waitcnt lgkmcnt(1)
	ds_bpermute_b32 v1, v14, v5
	v_or_b32_e32 v2, 8, v10
	v_mov_b32_e32 v3, v11
	v_cmp_lt_u64_e64 s[0:1], v[2:3], v[8:9]
	s_and_b64 s[0:1], vcc, s[0:1]
	s_and_saveexec_b64 s[2:3], s[0:1]
	s_cbranch_execz .LBB38_34
; %bb.33:
	v_mad_u64_u32 v[4:5], s[0:1], v2, s42, 0
	v_mov_b32_e32 v16, v5
	v_mad_u64_u32 v[2:3], s[0:1], v2, s43, v[16:17]
	v_mov_b32_e32 v5, v2
	v_lshlrev_b64 v[2:3], 3, v[4:5]
	v_add_co_u32_e64 v2, s[0:1], v12, v2
	v_addc_co_u32_e64 v3, s[0:1], v13, v3, s[0:1]
	global_load_dwordx2 v[4:5], v[2:3], off
	s_waitcnt vmcnt(0)
	v_mul_f64 v[4:5], v[4:5], s[36:37]
	s_waitcnt lgkmcnt(0)
	v_fmac_f64_e32 v[4:5], s[18:19], v[0:1]
	global_store_dwordx2 v[2:3], v[4:5], off
.LBB38_34:
	s_or_b64 exec, exec, s[2:3]
	s_waitcnt lgkmcnt(1)
	ds_bpermute_b32 v0, v14, v6
	s_waitcnt lgkmcnt(1)
	ds_bpermute_b32 v1, v14, v7
	v_or_b32_e32 v10, 12, v10
	v_cmp_lt_u64_e64 s[0:1], v[10:11], v[8:9]
	s_and_b64 s[0:1], vcc, s[0:1]
	s_and_b64 exec, exec, s[0:1]
	s_cbranch_execz .LBB38_36
; %bb.35:
	v_mad_u64_u32 v[2:3], s[0:1], v10, s42, 0
	v_mov_b32_e32 v4, v3
	v_mad_u64_u32 v[4:5], s[0:1], v10, s43, v[4:5]
	v_mov_b32_e32 v3, v4
	v_lshlrev_b64 v[2:3], 3, v[2:3]
	v_add_co_u32_e32 v2, vcc, v12, v2
	v_addc_co_u32_e32 v3, vcc, v13, v3, vcc
	global_load_dwordx2 v[4:5], v[2:3], off
	s_waitcnt vmcnt(0)
	v_mul_f64 v[4:5], v[4:5], s[36:37]
	s_waitcnt lgkmcnt(0)
	v_fmac_f64_e32 v[4:5], s[18:19], v[0:1]
	global_store_dwordx2 v[2:3], v[4:5], off
.LBB38_36:
	s_endpgm
	.section	.rodata,"a",@progbits
	.p2align	6, 0x0
	.amdhsa_kernel _ZN9rocsolver6v33100L16mfma_gemm_kernelIdldPKPdS4_S4_EEv18rocblas_operation_S5_T0_S6_S6_T1_T2_lS6_S6_lT3_lS6_S6_lS7_T4_lS6_S6_l
		.amdhsa_group_segment_fixed_size 0
		.amdhsa_private_segment_fixed_size 0
		.amdhsa_kernarg_size 424
		.amdhsa_user_sgpr_count 6
		.amdhsa_user_sgpr_private_segment_buffer 1
		.amdhsa_user_sgpr_dispatch_ptr 0
		.amdhsa_user_sgpr_queue_ptr 0
		.amdhsa_user_sgpr_kernarg_segment_ptr 1
		.amdhsa_user_sgpr_dispatch_id 0
		.amdhsa_user_sgpr_flat_scratch_init 0
		.amdhsa_user_sgpr_kernarg_preload_length 0
		.amdhsa_user_sgpr_kernarg_preload_offset 0
		.amdhsa_user_sgpr_private_segment_size 0
		.amdhsa_uses_dynamic_stack 0
		.amdhsa_system_sgpr_private_segment_wavefront_offset 0
		.amdhsa_system_sgpr_workgroup_id_x 1
		.amdhsa_system_sgpr_workgroup_id_y 1
		.amdhsa_system_sgpr_workgroup_id_z 1
		.amdhsa_system_sgpr_workgroup_info 0
		.amdhsa_system_vgpr_workitem_id 1
		.amdhsa_next_free_vgpr 37
		.amdhsa_next_free_sgpr 47
		.amdhsa_accum_offset 40
		.amdhsa_reserve_vcc 1
		.amdhsa_reserve_flat_scratch 0
		.amdhsa_float_round_mode_32 0
		.amdhsa_float_round_mode_16_64 0
		.amdhsa_float_denorm_mode_32 3
		.amdhsa_float_denorm_mode_16_64 3
		.amdhsa_dx10_clamp 1
		.amdhsa_ieee_mode 1
		.amdhsa_fp16_overflow 0
		.amdhsa_tg_split 0
		.amdhsa_exception_fp_ieee_invalid_op 0
		.amdhsa_exception_fp_denorm_src 0
		.amdhsa_exception_fp_ieee_div_zero 0
		.amdhsa_exception_fp_ieee_overflow 0
		.amdhsa_exception_fp_ieee_underflow 0
		.amdhsa_exception_fp_ieee_inexact 0
		.amdhsa_exception_int_div_zero 0
	.end_amdhsa_kernel
	.section	.text._ZN9rocsolver6v33100L16mfma_gemm_kernelIdldPKPdS4_S4_EEv18rocblas_operation_S5_T0_S6_S6_T1_T2_lS6_S6_lT3_lS6_S6_lS7_T4_lS6_S6_l,"axG",@progbits,_ZN9rocsolver6v33100L16mfma_gemm_kernelIdldPKPdS4_S4_EEv18rocblas_operation_S5_T0_S6_S6_T1_T2_lS6_S6_lT3_lS6_S6_lS7_T4_lS6_S6_l,comdat
.Lfunc_end38:
	.size	_ZN9rocsolver6v33100L16mfma_gemm_kernelIdldPKPdS4_S4_EEv18rocblas_operation_S5_T0_S6_S6_T1_T2_lS6_S6_lT3_lS6_S6_lS7_T4_lS6_S6_l, .Lfunc_end38-_ZN9rocsolver6v33100L16mfma_gemm_kernelIdldPKPdS4_S4_EEv18rocblas_operation_S5_T0_S6_S6_T1_T2_lS6_S6_lT3_lS6_S6_lS7_T4_lS6_S6_l
                                        ; -- End function
	.section	.AMDGPU.csdata,"",@progbits
; Kernel info:
; codeLenInByte = 2156
; NumSgprs: 51
; NumVgprs: 37
; NumAgprs: 0
; TotalNumVgprs: 37
; ScratchSize: 0
; MemoryBound: 0
; FloatMode: 240
; IeeeMode: 1
; LDSByteSize: 0 bytes/workgroup (compile time only)
; SGPRBlocks: 6
; VGPRBlocks: 4
; NumSGPRsForWavesPerEU: 51
; NumVGPRsForWavesPerEU: 37
; AccumOffset: 40
; Occupancy: 8
; WaveLimiterHint : 1
; COMPUTE_PGM_RSRC2:SCRATCH_EN: 0
; COMPUTE_PGM_RSRC2:USER_SGPR: 6
; COMPUTE_PGM_RSRC2:TRAP_HANDLER: 0
; COMPUTE_PGM_RSRC2:TGID_X_EN: 1
; COMPUTE_PGM_RSRC2:TGID_Y_EN: 1
; COMPUTE_PGM_RSRC2:TGID_Z_EN: 1
; COMPUTE_PGM_RSRC2:TIDIG_COMP_CNT: 1
; COMPUTE_PGM_RSRC3_GFX90A:ACCUM_OFFSET: 9
; COMPUTE_PGM_RSRC3_GFX90A:TG_SPLIT: 0
	.section	.text._ZN9rocsolver6v33100L11gemm_kernelIdlPKdPKPdS6_S6_EEvT0_S7_S7_T1_bT2_lS7_S7_lbT3_lS7_S7_lS8_T4_lS7_S7_l,"axG",@progbits,_ZN9rocsolver6v33100L11gemm_kernelIdlPKdPKPdS6_S6_EEvT0_S7_S7_T1_bT2_lS7_S7_lbT3_lS7_S7_lS8_T4_lS7_S7_l,comdat
	.globl	_ZN9rocsolver6v33100L11gemm_kernelIdlPKdPKPdS6_S6_EEvT0_S7_S7_T1_bT2_lS7_S7_lbT3_lS7_S7_lS8_T4_lS7_S7_l ; -- Begin function _ZN9rocsolver6v33100L11gemm_kernelIdlPKdPKPdS6_S6_EEvT0_S7_S7_T1_bT2_lS7_S7_lbT3_lS7_S7_lS8_T4_lS7_S7_l
	.p2align	8
	.type	_ZN9rocsolver6v33100L11gemm_kernelIdlPKdPKPdS6_S6_EEvT0_S7_S7_T1_bT2_lS7_S7_lbT3_lS7_S7_lS8_T4_lS7_S7_l,@function
_ZN9rocsolver6v33100L11gemm_kernelIdlPKdPKPdS6_S6_EEvT0_S7_S7_T1_bT2_lS7_S7_lbT3_lS7_S7_lS8_T4_lS7_S7_l: ; @_ZN9rocsolver6v33100L11gemm_kernelIdlPKdPKPdS6_S6_EEvT0_S7_S7_T1_bT2_lS7_S7_lbT3_lS7_S7_lS8_T4_lS7_S7_l
; %bb.0:
	s_load_dword s0, s[4:5], 0xbc
	s_load_dwordx8 s[12:19], s[4:5], 0x0
	v_and_b32_e32 v4, 0x3ff, v0
	v_mov_b32_e32 v5, 0
	v_mov_b32_e32 v1, s6
	s_waitcnt lgkmcnt(0)
	s_lshr_b32 s2, s0, 16
	s_and_b32 s0, s0, 0xffff
	v_mad_u64_u32 v[2:3], s[0:1], s0, v1, v[4:5]
	v_bfe_u32 v4, v0, 10, 10
	v_mov_b32_e32 v0, s7
	v_mad_u64_u32 v[0:1], s[0:1], s2, v0, v[4:5]
	v_cmp_gt_i64_e32 vcc, s[12:13], v[2:3]
	v_cmp_gt_i64_e64 s[0:1], s[14:15], v[0:1]
	s_mov_b32 s9, 0
	s_and_b64 s[0:1], vcc, s[0:1]
	s_and_saveexec_b64 s[2:3], s[0:1]
	s_cbranch_execz .LBB39_6
; %bb.1:
	s_load_dwordx8 s[20:27], s[4:5], 0x80
	s_load_dwordx2 s[0:1], s[4:5], 0xa0
	s_lshl_b64 s[6:7], s[8:9], 3
	v_cmp_lt_i64_e64 s[8:9], s[16:17], 1
	s_waitcnt lgkmcnt(0)
	s_add_u32 s2, s22, s6
	s_addc_u32 s3, s23, s7
	s_load_dwordx2 s[2:3], s[2:3], 0x0
	s_and_b64 vcc, exec, s[8:9]
	s_cbranch_vccnz .LBB39_4
; %bb.2:
	s_load_dwordx8 s[8:15], s[4:5], 0x28
	s_load_dwordx8 s[36:43], s[4:5], 0x58
	s_waitcnt lgkmcnt(0)
	s_add_u32 s4, s8, s6
	s_addc_u32 s5, s9, s7
	s_load_dwordx2 s[4:5], s[4:5], 0x0
	s_add_u32 s6, s36, s6
	s_addc_u32 s7, s37, s7
	s_load_dwordx2 s[6:7], s[6:7], 0x0
	s_lshl_b64 s[8:9], s[10:11], 3
	s_waitcnt lgkmcnt(0)
	s_add_u32 s8, s4, s8
	s_addc_u32 s9, s5, s9
	s_lshl_b64 s[4:5], s[38:39], 3
	s_add_u32 s6, s6, s4
	v_mul_lo_u32 v6, v3, s12
	v_mul_lo_u32 v7, v2, s13
	s_addc_u32 s7, s7, s5
	v_mad_u64_u32 v[4:5], s[4:5], v2, s12, 0
	v_add3_u32 v5, v5, v7, v6
	v_lshlrev_b64 v[4:5], 3, v[4:5]
	v_mov_b32_e32 v7, s9
	v_add_co_u32_e32 v6, vcc, s8, v4
	v_addc_co_u32_e32 v7, vcc, v7, v5, vcc
	v_mul_lo_u32 v8, v1, s42
	v_mul_lo_u32 v9, v0, s43
	v_mad_u64_u32 v[4:5], s[4:5], v0, s42, 0
	v_add3_u32 v5, v5, v9, v8
	v_lshlrev_b64 v[4:5], 3, v[4:5]
	v_mov_b32_e32 v9, s7
	v_add_co_u32_e32 v8, vcc, s6, v4
	s_lshl_b64 s[4:5], s[40:41], 3
	s_lshl_b64 s[6:7], s[14:15], 3
	v_addc_co_u32_e32 v9, vcc, v9, v5, vcc
	v_pk_mov_b32 v[4:5], 0, 0
	v_mov_b32_e32 v10, s5
	v_mov_b32_e32 v11, s7
.LBB39_3:                               ; =>This Inner Loop Header: Depth=1
	global_load_dwordx2 v[12:13], v[6:7], off
	global_load_dwordx2 v[14:15], v[8:9], off
	v_add_co_u32_e32 v8, vcc, s4, v8
	v_addc_co_u32_e32 v9, vcc, v9, v10, vcc
	s_add_u32 s16, s16, -1
	v_add_co_u32_e32 v6, vcc, s6, v6
	s_addc_u32 s17, s17, -1
	v_addc_co_u32_e32 v7, vcc, v7, v11, vcc
	s_cmp_eq_u64 s[16:17], 0
	s_waitcnt vmcnt(0)
	v_fmac_f64_e32 v[4:5], v[12:13], v[14:15]
	s_cbranch_scc0 .LBB39_3
	s_branch .LBB39_5
.LBB39_4:
	v_pk_mov_b32 v[4:5], 0, 0
.LBB39_5:
	s_lshl_b64 s[8:9], s[24:25], 3
	s_waitcnt lgkmcnt(0)
	s_add_u32 s8, s2, s8
	s_addc_u32 s9, s3, s9
	v_mul_lo_u32 v6, v3, s26
	v_mul_lo_u32 v7, v2, s27
	v_mad_u64_u32 v[2:3], s[2:3], v2, s26, 0
	v_add3_u32 v3, v3, v7, v6
	v_mul_lo_u32 v6, v1, s0
	v_mul_lo_u32 v7, v0, s1
	v_mad_u64_u32 v[0:1], s[0:1], v0, s0, 0
	v_lshlrev_b64 v[2:3], 3, v[2:3]
	v_add3_u32 v1, v1, v7, v6
	v_mov_b32_e32 v6, s9
	v_add_co_u32_e32 v2, vcc, s8, v2
	v_addc_co_u32_e32 v3, vcc, v6, v3, vcc
	v_lshlrev_b64 v[0:1], 3, v[0:1]
	v_add_co_u32_e32 v0, vcc, v2, v0
	v_addc_co_u32_e32 v1, vcc, v3, v1, vcc
	s_load_dwordx2 s[4:5], s[18:19], 0x0
	s_load_dwordx2 s[6:7], s[20:21], 0x0
	global_load_dwordx2 v[2:3], v[0:1], off
	s_waitcnt vmcnt(0) lgkmcnt(0)
	v_mul_f64 v[2:3], s[6:7], v[2:3]
	v_fmac_f64_e32 v[2:3], s[4:5], v[4:5]
	global_store_dwordx2 v[0:1], v[2:3], off
.LBB39_6:
	s_endpgm
	.section	.rodata,"a",@progbits
	.p2align	6, 0x0
	.amdhsa_kernel _ZN9rocsolver6v33100L11gemm_kernelIdlPKdPKPdS6_S6_EEvT0_S7_S7_T1_bT2_lS7_S7_lbT3_lS7_S7_lS8_T4_lS7_S7_l
		.amdhsa_group_segment_fixed_size 0
		.amdhsa_private_segment_fixed_size 0
		.amdhsa_kernarg_size 432
		.amdhsa_user_sgpr_count 6
		.amdhsa_user_sgpr_private_segment_buffer 1
		.amdhsa_user_sgpr_dispatch_ptr 0
		.amdhsa_user_sgpr_queue_ptr 0
		.amdhsa_user_sgpr_kernarg_segment_ptr 1
		.amdhsa_user_sgpr_dispatch_id 0
		.amdhsa_user_sgpr_flat_scratch_init 0
		.amdhsa_user_sgpr_kernarg_preload_length 0
		.amdhsa_user_sgpr_kernarg_preload_offset 0
		.amdhsa_user_sgpr_private_segment_size 0
		.amdhsa_uses_dynamic_stack 0
		.amdhsa_system_sgpr_private_segment_wavefront_offset 0
		.amdhsa_system_sgpr_workgroup_id_x 1
		.amdhsa_system_sgpr_workgroup_id_y 1
		.amdhsa_system_sgpr_workgroup_id_z 1
		.amdhsa_system_sgpr_workgroup_info 0
		.amdhsa_system_vgpr_workitem_id 1
		.amdhsa_next_free_vgpr 16
		.amdhsa_next_free_sgpr 44
		.amdhsa_accum_offset 16
		.amdhsa_reserve_vcc 1
		.amdhsa_reserve_flat_scratch 0
		.amdhsa_float_round_mode_32 0
		.amdhsa_float_round_mode_16_64 0
		.amdhsa_float_denorm_mode_32 3
		.amdhsa_float_denorm_mode_16_64 3
		.amdhsa_dx10_clamp 1
		.amdhsa_ieee_mode 1
		.amdhsa_fp16_overflow 0
		.amdhsa_tg_split 0
		.amdhsa_exception_fp_ieee_invalid_op 0
		.amdhsa_exception_fp_denorm_src 0
		.amdhsa_exception_fp_ieee_div_zero 0
		.amdhsa_exception_fp_ieee_overflow 0
		.amdhsa_exception_fp_ieee_underflow 0
		.amdhsa_exception_fp_ieee_inexact 0
		.amdhsa_exception_int_div_zero 0
	.end_amdhsa_kernel
	.section	.text._ZN9rocsolver6v33100L11gemm_kernelIdlPKdPKPdS6_S6_EEvT0_S7_S7_T1_bT2_lS7_S7_lbT3_lS7_S7_lS8_T4_lS7_S7_l,"axG",@progbits,_ZN9rocsolver6v33100L11gemm_kernelIdlPKdPKPdS6_S6_EEvT0_S7_S7_T1_bT2_lS7_S7_lbT3_lS7_S7_lS8_T4_lS7_S7_l,comdat
.Lfunc_end39:
	.size	_ZN9rocsolver6v33100L11gemm_kernelIdlPKdPKPdS6_S6_EEvT0_S7_S7_T1_bT2_lS7_S7_lbT3_lS7_S7_lS8_T4_lS7_S7_l, .Lfunc_end39-_ZN9rocsolver6v33100L11gemm_kernelIdlPKdPKPdS6_S6_EEvT0_S7_S7_T1_bT2_lS7_S7_lbT3_lS7_S7_lS8_T4_lS7_S7_l
                                        ; -- End function
	.section	.AMDGPU.csdata,"",@progbits
; Kernel info:
; codeLenInByte = 604
; NumSgprs: 48
; NumVgprs: 16
; NumAgprs: 0
; TotalNumVgprs: 16
; ScratchSize: 0
; MemoryBound: 0
; FloatMode: 240
; IeeeMode: 1
; LDSByteSize: 0 bytes/workgroup (compile time only)
; SGPRBlocks: 5
; VGPRBlocks: 1
; NumSGPRsForWavesPerEU: 48
; NumVGPRsForWavesPerEU: 16
; AccumOffset: 16
; Occupancy: 8
; WaveLimiterHint : 1
; COMPUTE_PGM_RSRC2:SCRATCH_EN: 0
; COMPUTE_PGM_RSRC2:USER_SGPR: 6
; COMPUTE_PGM_RSRC2:TRAP_HANDLER: 0
; COMPUTE_PGM_RSRC2:TGID_X_EN: 1
; COMPUTE_PGM_RSRC2:TGID_Y_EN: 1
; COMPUTE_PGM_RSRC2:TGID_Z_EN: 1
; COMPUTE_PGM_RSRC2:TIDIG_COMP_CNT: 1
; COMPUTE_PGM_RSRC3_GFX90A:ACCUM_OFFSET: 3
; COMPUTE_PGM_RSRC3_GFX90A:TG_SPLIT: 0
	.section	.text._ZN9rocsolver6v33100L11gemm_kernelIdldPKPdS4_S4_EEvT0_S5_S5_T1_bT2_lS5_S5_lbT3_lS5_S5_lS6_T4_lS5_S5_l,"axG",@progbits,_ZN9rocsolver6v33100L11gemm_kernelIdldPKPdS4_S4_EEvT0_S5_S5_T1_bT2_lS5_S5_lbT3_lS5_S5_lS6_T4_lS5_S5_l,comdat
	.globl	_ZN9rocsolver6v33100L11gemm_kernelIdldPKPdS4_S4_EEvT0_S5_S5_T1_bT2_lS5_S5_lbT3_lS5_S5_lS6_T4_lS5_S5_l ; -- Begin function _ZN9rocsolver6v33100L11gemm_kernelIdldPKPdS4_S4_EEvT0_S5_S5_T1_bT2_lS5_S5_lbT3_lS5_S5_lS6_T4_lS5_S5_l
	.p2align	8
	.type	_ZN9rocsolver6v33100L11gemm_kernelIdldPKPdS4_S4_EEvT0_S5_S5_T1_bT2_lS5_S5_lbT3_lS5_S5_lS6_T4_lS5_S5_l,@function
_ZN9rocsolver6v33100L11gemm_kernelIdldPKPdS4_S4_EEvT0_S5_S5_T1_bT2_lS5_S5_lbT3_lS5_S5_lS6_T4_lS5_S5_l: ; @_ZN9rocsolver6v33100L11gemm_kernelIdldPKPdS4_S4_EEvT0_S5_S5_T1_bT2_lS5_S5_lbT3_lS5_S5_lS6_T4_lS5_S5_l
; %bb.0:
	s_load_dword s0, s[4:5], 0xbc
	s_load_dwordx8 s[12:19], s[4:5], 0x0
	v_and_b32_e32 v4, 0x3ff, v0
	v_mov_b32_e32 v5, 0
	v_mov_b32_e32 v1, s6
	s_waitcnt lgkmcnt(0)
	s_lshr_b32 s2, s0, 16
	s_and_b32 s0, s0, 0xffff
	v_mad_u64_u32 v[2:3], s[0:1], s0, v1, v[4:5]
	v_bfe_u32 v4, v0, 10, 10
	v_mov_b32_e32 v0, s7
	v_mad_u64_u32 v[0:1], s[0:1], s2, v0, v[4:5]
	v_cmp_gt_i64_e32 vcc, s[12:13], v[2:3]
	v_cmp_gt_i64_e64 s[0:1], s[14:15], v[0:1]
	s_mov_b32 s9, 0
	s_and_b64 s[0:1], vcc, s[0:1]
	s_and_saveexec_b64 s[2:3], s[0:1]
	s_cbranch_execz .LBB40_6
; %bb.1:
	s_load_dwordx8 s[20:27], s[4:5], 0x80
	s_load_dwordx2 s[0:1], s[4:5], 0xa0
	s_lshl_b64 s[6:7], s[8:9], 3
	v_cmp_lt_i64_e64 s[8:9], s[16:17], 1
	s_waitcnt lgkmcnt(0)
	s_add_u32 s2, s22, s6
	s_addc_u32 s3, s23, s7
	s_load_dwordx2 s[2:3], s[2:3], 0x0
	s_and_b64 vcc, exec, s[8:9]
	s_cbranch_vccnz .LBB40_4
; %bb.2:
	s_load_dwordx8 s[8:15], s[4:5], 0x28
	s_load_dwordx8 s[36:43], s[4:5], 0x58
	s_waitcnt lgkmcnt(0)
	s_add_u32 s4, s8, s6
	s_addc_u32 s5, s9, s7
	s_load_dwordx2 s[4:5], s[4:5], 0x0
	s_add_u32 s6, s36, s6
	s_addc_u32 s7, s37, s7
	s_load_dwordx2 s[6:7], s[6:7], 0x0
	s_lshl_b64 s[8:9], s[10:11], 3
	s_waitcnt lgkmcnt(0)
	s_add_u32 s8, s4, s8
	s_addc_u32 s9, s5, s9
	s_lshl_b64 s[4:5], s[38:39], 3
	s_add_u32 s6, s6, s4
	v_mul_lo_u32 v6, v3, s12
	v_mul_lo_u32 v7, v2, s13
	s_addc_u32 s7, s7, s5
	v_mad_u64_u32 v[4:5], s[4:5], v2, s12, 0
	v_add3_u32 v5, v5, v7, v6
	v_lshlrev_b64 v[4:5], 3, v[4:5]
	v_mov_b32_e32 v7, s9
	v_add_co_u32_e32 v6, vcc, s8, v4
	v_addc_co_u32_e32 v7, vcc, v7, v5, vcc
	v_mul_lo_u32 v8, v1, s42
	v_mul_lo_u32 v9, v0, s43
	v_mad_u64_u32 v[4:5], s[4:5], v0, s42, 0
	v_add3_u32 v5, v5, v9, v8
	v_lshlrev_b64 v[4:5], 3, v[4:5]
	v_mov_b32_e32 v9, s7
	v_add_co_u32_e32 v8, vcc, s6, v4
	s_lshl_b64 s[4:5], s[40:41], 3
	s_lshl_b64 s[6:7], s[14:15], 3
	v_addc_co_u32_e32 v9, vcc, v9, v5, vcc
	v_pk_mov_b32 v[4:5], 0, 0
	v_mov_b32_e32 v10, s5
	v_mov_b32_e32 v11, s7
.LBB40_3:                               ; =>This Inner Loop Header: Depth=1
	global_load_dwordx2 v[12:13], v[6:7], off
	global_load_dwordx2 v[14:15], v[8:9], off
	v_add_co_u32_e32 v8, vcc, s4, v8
	v_addc_co_u32_e32 v9, vcc, v9, v10, vcc
	s_add_u32 s16, s16, -1
	v_add_co_u32_e32 v6, vcc, s6, v6
	s_addc_u32 s17, s17, -1
	v_addc_co_u32_e32 v7, vcc, v7, v11, vcc
	s_cmp_eq_u64 s[16:17], 0
	s_waitcnt vmcnt(0)
	v_fmac_f64_e32 v[4:5], v[12:13], v[14:15]
	s_cbranch_scc0 .LBB40_3
	s_branch .LBB40_5
.LBB40_4:
	v_pk_mov_b32 v[4:5], 0, 0
.LBB40_5:
	s_lshl_b64 s[4:5], s[24:25], 3
	s_waitcnt lgkmcnt(0)
	s_add_u32 s4, s2, s4
	s_addc_u32 s5, s3, s5
	v_mul_lo_u32 v6, v3, s26
	v_mul_lo_u32 v7, v2, s27
	v_mad_u64_u32 v[2:3], s[2:3], v2, s26, 0
	v_add3_u32 v3, v3, v7, v6
	v_mul_lo_u32 v6, v1, s0
	v_mul_lo_u32 v7, v0, s1
	v_mad_u64_u32 v[0:1], s[0:1], v0, s0, 0
	v_lshlrev_b64 v[2:3], 3, v[2:3]
	v_add3_u32 v1, v1, v7, v6
	v_mov_b32_e32 v6, s5
	v_add_co_u32_e32 v2, vcc, s4, v2
	v_addc_co_u32_e32 v3, vcc, v6, v3, vcc
	v_lshlrev_b64 v[0:1], 3, v[0:1]
	v_add_co_u32_e32 v0, vcc, v2, v0
	v_addc_co_u32_e32 v1, vcc, v3, v1, vcc
	global_load_dwordx2 v[2:3], v[0:1], off
	s_waitcnt vmcnt(0)
	v_mul_f64 v[2:3], v[2:3], s[20:21]
	v_fmac_f64_e32 v[2:3], s[18:19], v[4:5]
	global_store_dwordx2 v[0:1], v[2:3], off
.LBB40_6:
	s_endpgm
	.section	.rodata,"a",@progbits
	.p2align	6, 0x0
	.amdhsa_kernel _ZN9rocsolver6v33100L11gemm_kernelIdldPKPdS4_S4_EEvT0_S5_S5_T1_bT2_lS5_S5_lbT3_lS5_S5_lS6_T4_lS5_S5_l
		.amdhsa_group_segment_fixed_size 0
		.amdhsa_private_segment_fixed_size 0
		.amdhsa_kernarg_size 432
		.amdhsa_user_sgpr_count 6
		.amdhsa_user_sgpr_private_segment_buffer 1
		.amdhsa_user_sgpr_dispatch_ptr 0
		.amdhsa_user_sgpr_queue_ptr 0
		.amdhsa_user_sgpr_kernarg_segment_ptr 1
		.amdhsa_user_sgpr_dispatch_id 0
		.amdhsa_user_sgpr_flat_scratch_init 0
		.amdhsa_user_sgpr_kernarg_preload_length 0
		.amdhsa_user_sgpr_kernarg_preload_offset 0
		.amdhsa_user_sgpr_private_segment_size 0
		.amdhsa_uses_dynamic_stack 0
		.amdhsa_system_sgpr_private_segment_wavefront_offset 0
		.amdhsa_system_sgpr_workgroup_id_x 1
		.amdhsa_system_sgpr_workgroup_id_y 1
		.amdhsa_system_sgpr_workgroup_id_z 1
		.amdhsa_system_sgpr_workgroup_info 0
		.amdhsa_system_vgpr_workitem_id 1
		.amdhsa_next_free_vgpr 16
		.amdhsa_next_free_sgpr 44
		.amdhsa_accum_offset 16
		.amdhsa_reserve_vcc 1
		.amdhsa_reserve_flat_scratch 0
		.amdhsa_float_round_mode_32 0
		.amdhsa_float_round_mode_16_64 0
		.amdhsa_float_denorm_mode_32 3
		.amdhsa_float_denorm_mode_16_64 3
		.amdhsa_dx10_clamp 1
		.amdhsa_ieee_mode 1
		.amdhsa_fp16_overflow 0
		.amdhsa_tg_split 0
		.amdhsa_exception_fp_ieee_invalid_op 0
		.amdhsa_exception_fp_denorm_src 0
		.amdhsa_exception_fp_ieee_div_zero 0
		.amdhsa_exception_fp_ieee_overflow 0
		.amdhsa_exception_fp_ieee_underflow 0
		.amdhsa_exception_fp_ieee_inexact 0
		.amdhsa_exception_int_div_zero 0
	.end_amdhsa_kernel
	.section	.text._ZN9rocsolver6v33100L11gemm_kernelIdldPKPdS4_S4_EEvT0_S5_S5_T1_bT2_lS5_S5_lbT3_lS5_S5_lS6_T4_lS5_S5_l,"axG",@progbits,_ZN9rocsolver6v33100L11gemm_kernelIdldPKPdS4_S4_EEvT0_S5_S5_T1_bT2_lS5_S5_lbT3_lS5_S5_lS6_T4_lS5_S5_l,comdat
.Lfunc_end40:
	.size	_ZN9rocsolver6v33100L11gemm_kernelIdldPKPdS4_S4_EEvT0_S5_S5_T1_bT2_lS5_S5_lbT3_lS5_S5_lS6_T4_lS5_S5_l, .Lfunc_end40-_ZN9rocsolver6v33100L11gemm_kernelIdldPKPdS4_S4_EEvT0_S5_S5_T1_bT2_lS5_S5_lbT3_lS5_S5_lS6_T4_lS5_S5_l
                                        ; -- End function
	.section	.AMDGPU.csdata,"",@progbits
; Kernel info:
; codeLenInByte = 588
; NumSgprs: 48
; NumVgprs: 16
; NumAgprs: 0
; TotalNumVgprs: 16
; ScratchSize: 0
; MemoryBound: 0
; FloatMode: 240
; IeeeMode: 1
; LDSByteSize: 0 bytes/workgroup (compile time only)
; SGPRBlocks: 5
; VGPRBlocks: 1
; NumSGPRsForWavesPerEU: 48
; NumVGPRsForWavesPerEU: 16
; AccumOffset: 16
; Occupancy: 8
; WaveLimiterHint : 1
; COMPUTE_PGM_RSRC2:SCRATCH_EN: 0
; COMPUTE_PGM_RSRC2:USER_SGPR: 6
; COMPUTE_PGM_RSRC2:TRAP_HANDLER: 0
; COMPUTE_PGM_RSRC2:TGID_X_EN: 1
; COMPUTE_PGM_RSRC2:TGID_Y_EN: 1
; COMPUTE_PGM_RSRC2:TGID_Z_EN: 1
; COMPUTE_PGM_RSRC2:TIDIG_COMP_CNT: 1
; COMPUTE_PGM_RSRC3_GFX90A:ACCUM_OFFSET: 3
; COMPUTE_PGM_RSRC3_GFX90A:TG_SPLIT: 0
	.section	.text._ZN9rocsolver6v33100L9get_arrayIdlEEvPPT_S3_lT0_,"axG",@progbits,_ZN9rocsolver6v33100L9get_arrayIdlEEvPPT_S3_lT0_,comdat
	.globl	_ZN9rocsolver6v33100L9get_arrayIdlEEvPPT_S3_lT0_ ; -- Begin function _ZN9rocsolver6v33100L9get_arrayIdlEEvPPT_S3_lT0_
	.p2align	8
	.type	_ZN9rocsolver6v33100L9get_arrayIdlEEvPPT_S3_lT0_,@function
_ZN9rocsolver6v33100L9get_arrayIdlEEvPPT_S3_lT0_: ; @_ZN9rocsolver6v33100L9get_arrayIdlEEvPPT_S3_lT0_
; %bb.0:
	s_load_dword s0, s[4:5], 0x2c
	s_load_dwordx8 s[8:15], s[4:5], 0x0
	v_mov_b32_e32 v1, 0
	v_mov_b32_e32 v2, s6
	s_waitcnt lgkmcnt(0)
	s_and_b32 s0, s0, 0xffff
	v_mad_u64_u32 v[0:1], s[0:1], s0, v2, v[0:1]
	v_cmp_gt_i64_e32 vcc, s[14:15], v[0:1]
	s_and_saveexec_b64 s[0:1], vcc
	s_cbranch_execz .LBB41_2
; %bb.1:
	v_mul_lo_u32 v4, v1, s12
	v_mul_lo_u32 v5, v0, s13
	v_mad_u64_u32 v[2:3], s[0:1], v0, s12, 0
	v_add3_u32 v3, v3, v5, v4
	v_lshlrev_b64 v[2:3], 3, v[2:3]
	v_mov_b32_e32 v4, s11
	v_add_co_u32_e32 v2, vcc, s10, v2
	v_addc_co_u32_e32 v3, vcc, v4, v3, vcc
	v_lshlrev_b64 v[0:1], 3, v[0:1]
	v_mov_b32_e32 v4, s9
	v_add_co_u32_e32 v0, vcc, s8, v0
	v_addc_co_u32_e32 v1, vcc, v4, v1, vcc
	global_store_dwordx2 v[0:1], v[2:3], off
.LBB41_2:
	s_endpgm
	.section	.rodata,"a",@progbits
	.p2align	6, 0x0
	.amdhsa_kernel _ZN9rocsolver6v33100L9get_arrayIdlEEvPPT_S3_lT0_
		.amdhsa_group_segment_fixed_size 0
		.amdhsa_private_segment_fixed_size 0
		.amdhsa_kernarg_size 288
		.amdhsa_user_sgpr_count 6
		.amdhsa_user_sgpr_private_segment_buffer 1
		.amdhsa_user_sgpr_dispatch_ptr 0
		.amdhsa_user_sgpr_queue_ptr 0
		.amdhsa_user_sgpr_kernarg_segment_ptr 1
		.amdhsa_user_sgpr_dispatch_id 0
		.amdhsa_user_sgpr_flat_scratch_init 0
		.amdhsa_user_sgpr_kernarg_preload_length 0
		.amdhsa_user_sgpr_kernarg_preload_offset 0
		.amdhsa_user_sgpr_private_segment_size 0
		.amdhsa_uses_dynamic_stack 0
		.amdhsa_system_sgpr_private_segment_wavefront_offset 0
		.amdhsa_system_sgpr_workgroup_id_x 1
		.amdhsa_system_sgpr_workgroup_id_y 0
		.amdhsa_system_sgpr_workgroup_id_z 0
		.amdhsa_system_sgpr_workgroup_info 0
		.amdhsa_system_vgpr_workitem_id 0
		.amdhsa_next_free_vgpr 6
		.amdhsa_next_free_sgpr 16
		.amdhsa_accum_offset 8
		.amdhsa_reserve_vcc 1
		.amdhsa_reserve_flat_scratch 0
		.amdhsa_float_round_mode_32 0
		.amdhsa_float_round_mode_16_64 0
		.amdhsa_float_denorm_mode_32 3
		.amdhsa_float_denorm_mode_16_64 3
		.amdhsa_dx10_clamp 1
		.amdhsa_ieee_mode 1
		.amdhsa_fp16_overflow 0
		.amdhsa_tg_split 0
		.amdhsa_exception_fp_ieee_invalid_op 0
		.amdhsa_exception_fp_denorm_src 0
		.amdhsa_exception_fp_ieee_div_zero 0
		.amdhsa_exception_fp_ieee_overflow 0
		.amdhsa_exception_fp_ieee_underflow 0
		.amdhsa_exception_fp_ieee_inexact 0
		.amdhsa_exception_int_div_zero 0
	.end_amdhsa_kernel
	.section	.text._ZN9rocsolver6v33100L9get_arrayIdlEEvPPT_S3_lT0_,"axG",@progbits,_ZN9rocsolver6v33100L9get_arrayIdlEEvPPT_S3_lT0_,comdat
.Lfunc_end41:
	.size	_ZN9rocsolver6v33100L9get_arrayIdlEEvPPT_S3_lT0_, .Lfunc_end41-_ZN9rocsolver6v33100L9get_arrayIdlEEvPPT_S3_lT0_
                                        ; -- End function
	.section	.AMDGPU.csdata,"",@progbits
; Kernel info:
; codeLenInByte = 140
; NumSgprs: 20
; NumVgprs: 6
; NumAgprs: 0
; TotalNumVgprs: 6
; ScratchSize: 0
; MemoryBound: 0
; FloatMode: 240
; IeeeMode: 1
; LDSByteSize: 0 bytes/workgroup (compile time only)
; SGPRBlocks: 2
; VGPRBlocks: 0
; NumSGPRsForWavesPerEU: 20
; NumVGPRsForWavesPerEU: 6
; AccumOffset: 8
; Occupancy: 8
; WaveLimiterHint : 0
; COMPUTE_PGM_RSRC2:SCRATCH_EN: 0
; COMPUTE_PGM_RSRC2:USER_SGPR: 6
; COMPUTE_PGM_RSRC2:TRAP_HANDLER: 0
; COMPUTE_PGM_RSRC2:TGID_X_EN: 1
; COMPUTE_PGM_RSRC2:TGID_Y_EN: 0
; COMPUTE_PGM_RSRC2:TGID_Z_EN: 0
; COMPUTE_PGM_RSRC2:TIDIG_COMP_CNT: 0
; COMPUTE_PGM_RSRC3_GFX90A:ACCUM_OFFSET: 1
; COMPUTE_PGM_RSRC3_GFX90A:TG_SPLIT: 0
	.section	.text._ZN9rocsolver6v33100L16mfma_gemm_kernelIdlPKdPdPKS4_S6_EEv18rocblas_operation_S7_T0_S8_S8_T1_T2_lS8_S8_lT3_lS8_S8_lS9_T4_lS8_S8_l,"axG",@progbits,_ZN9rocsolver6v33100L16mfma_gemm_kernelIdlPKdPdPKS4_S6_EEv18rocblas_operation_S7_T0_S8_S8_T1_T2_lS8_S8_lT3_lS8_S8_lS9_T4_lS8_S8_l,comdat
	.globl	_ZN9rocsolver6v33100L16mfma_gemm_kernelIdlPKdPdPKS4_S6_EEv18rocblas_operation_S7_T0_S8_S8_T1_T2_lS8_S8_lT3_lS8_S8_lS9_T4_lS8_S8_l ; -- Begin function _ZN9rocsolver6v33100L16mfma_gemm_kernelIdlPKdPdPKS4_S6_EEv18rocblas_operation_S7_T0_S8_S8_T1_T2_lS8_S8_lT3_lS8_S8_lS9_T4_lS8_S8_l
	.p2align	8
	.type	_ZN9rocsolver6v33100L16mfma_gemm_kernelIdlPKdPdPKS4_S6_EEv18rocblas_operation_S7_T0_S8_S8_T1_T2_lS8_S8_lT3_lS8_S8_lS9_T4_lS8_S8_l,@function
_ZN9rocsolver6v33100L16mfma_gemm_kernelIdlPKdPdPKS4_S6_EEv18rocblas_operation_S7_T0_S8_S8_T1_T2_lS8_S8_lT3_lS8_S8_lS9_T4_lS8_S8_l: ; @_ZN9rocsolver6v33100L16mfma_gemm_kernelIdlPKdPdPKS4_S6_EEv18rocblas_operation_S7_T0_S8_S8_T1_T2_lS8_S8_lT3_lS8_S8_lS9_T4_lS8_S8_l
; %bb.0:
	s_load_dword s0, s[4:5], 0xb4
	s_load_dwordx16 s[12:27], s[4:5], 0x8
	v_and_b32_e32 v1, 0x3ff, v0
	v_lshrrev_b32_e32 v8, 6, v1
	v_mov_b32_e32 v9, 0
	s_waitcnt lgkmcnt(0)
	s_lshr_b32 s2, s0, 16
	s_bfe_u32 s0, s0, 0xa0006
	v_bfe_u32 v2, v0, 10, 10
	v_mov_b32_e32 v0, s6
	v_mov_b32_e32 v3, v9
	v_mad_u64_u32 v[22:23], s[0:1], s0, v0, v[8:9]
	v_mov_b32_e32 v0, s7
	v_mad_u64_u32 v[26:27], s[0:1], s2, v0, v[2:3]
	v_lshlrev_b64 v[12:13], 4, v[22:23]
	v_lshlrev_b64 v[14:15], 4, v[26:27]
	v_cmp_gt_i64_e32 vcc, s[12:13], v[12:13]
	v_cmp_gt_i64_e64 s[0:1], s[14:15], v[14:15]
	s_and_b64 s[0:1], vcc, s[0:1]
	s_and_saveexec_b64 s[2:3], s[0:1]
	s_cbranch_execz .LBB42_36
; %bb.1:
	s_load_dwordx8 s[36:43], s[4:5], 0x78
	s_load_dwordx2 s[28:29], s[4:5], 0x98
	v_add_co_u32_e32 v2, vcc, 16, v12
	v_addc_co_u32_e32 v3, vcc, 0, v13, vcc
	s_and_b32 s0, s12, 15
	s_mov_b32 s9, 0
	v_mov_b32_e32 v0, s0
	v_cmp_lt_u64_e32 vcc, s[12:13], v[2:3]
	s_and_b32 s0, s14, 15
	s_lshl_b64 s[2:3], s[8:9], 3
	v_cndmask_b32_e32 v8, 16, v0, vcc
	v_add_co_u32_e32 v2, vcc, 16, v14
	v_mov_b32_e32 v0, s0
	s_waitcnt lgkmcnt(0)
	s_add_u32 s0, s38, s2
	v_addc_co_u32_e32 v3, vcc, 0, v15, vcc
	s_addc_u32 s1, s39, s3
	v_cmp_lt_u64_e32 vcc, s[14:15], v[2:3]
	s_load_dwordx2 s[10:11], s[18:19], 0x0
	s_load_dwordx2 s[12:13], s[36:37], 0x0
	;; [unrolled: 1-line block ×3, first 2 shown]
	v_cndmask_b32_e32 v16, 16, v0, vcc
	v_mov_b32_e32 v17, v9
	v_bfe_u32 v18, v1, 2, 4
	v_mov_b32_e32 v19, v9
	v_cmp_lt_i64_e64 s[0:1], s[16:17], 1
	v_pk_mov_b32 v[6:7], 0, 0
	v_and_b32_e32 v21, 63, v1
	v_and_b32_e32 v10, 3, v1
	v_mov_b32_e32 v11, v9
	s_and_b64 vcc, exec, s[0:1]
	v_cmp_lt_u64_e64 s[0:1], v[18:19], v[16:17]
	v_mbcnt_lo_u32_b32 v34, -1, 0
	v_pk_mov_b32 v[4:5], v[6:7], v[6:7] op_sel:[0,1]
	v_pk_mov_b32 v[2:3], v[6:7], v[6:7] op_sel:[0,1]
	;; [unrolled: 1-line block ×3, first 2 shown]
	s_cbranch_vccnz .LBB42_28
; %bb.2:
	s_load_dwordx2 s[6:7], s[4:5], 0x0
	s_load_dwordx8 s[44:51], s[4:5], 0x48
	s_load_dwordx2 s[34:35], s[4:5], 0x68
	v_mov_b32_e32 v1, 0
	v_and_b32_e32 v0, 15, v21
	s_waitcnt lgkmcnt(0)
	s_cmpk_lg_i32 s6, 0x6f
	s_cselect_b64 s[18:19], -1, 0
	s_cmpk_lg_i32 s7, 0x6f
	s_cselect_b64 s[30:31], -1, 0
	s_add_u32 s2, s46, s2
	s_addc_u32 s3, s47, s3
	s_cmpk_eq_i32 s7, 0x6f
	s_cselect_b32 s33, s34, s50
	s_cselect_b32 s46, s35, s51
	s_cmpk_eq_i32 s6, 0x6f
	s_cselect_b32 s9, s24, s26
	s_cselect_b32 s38, s25, s27
	v_lshrrev_b32_e32 v20, 4, v21
	v_cmp_lt_u64_e64 s[4:5], v[0:1], v[8:9]
	v_cmp_lt_u64_e64 s[6:7], v[0:1], v[16:17]
	v_mul_lo_u32 v1, s38, v22
	v_mul_lo_u32 v4, s9, v23
	v_mad_u64_u32 v[2:3], s[38:39], s9, v22, 0
	v_add3_u32 v3, v3, v4, v1
	v_mad_u64_u32 v[4:5], s[38:39], s26, v20, 0
	v_mov_b32_e32 v6, v5
	v_mad_u64_u32 v[6:7], s[38:39], s27, v20, v[6:7]
	v_mov_b32_e32 v5, v6
	v_lshlrev_b64 v[2:3], 7, v[2:3]
	v_lshlrev_b64 v[4:5], 3, v[4:5]
	s_mul_i32 s9, s45, s8
	s_mul_hi_u32 s38, s44, s8
	v_add_co_u32_e32 v1, vcc, v2, v4
	s_add_i32 s9, s38, s9
	s_mul_i32 s8, s44, s8
	v_addc_co_u32_e32 v4, vcc, v3, v5, vcc
	s_lshl_b64 s[38:39], s[8:9], 3
	v_mov_b32_e32 v24, s39
	v_add_co_u32_e32 v1, vcc, s38, v1
	v_addc_co_u32_e32 v22, vcc, v4, v24, vcc
	v_mad_u64_u32 v[4:5], s[8:9], s24, v0, 0
	v_mov_b32_e32 v6, v5
	v_mad_u64_u32 v[6:7], s[8:9], s25, v0, v[6:7]
	v_mov_b32_e32 v5, v6
	v_lshlrev_b64 v[4:5], 3, v[4:5]
	s_lshl_b64 s[8:9], s[22:23], 3
	v_add_co_u32_e32 v1, vcc, v1, v4
	s_add_u32 s22, s20, s8
	v_addc_co_u32_e32 v4, vcc, v22, v5, vcc
	s_addc_u32 s23, s21, s9
	v_mov_b32_e32 v5, s23
	v_add_co_u32_e32 v22, vcc, s22, v1
	v_addc_co_u32_e32 v23, vcc, v5, v4, vcc
	v_mad_u64_u32 v[4:5], s[20:21], s26, v18, 0
	v_mov_b32_e32 v6, v5
	v_mad_u64_u32 v[6:7], s[20:21], s27, v18, v[6:7]
	v_mov_b32_e32 v5, v6
	v_lshlrev_b64 v[4:5], 3, v[4:5]
	v_add_co_u32_e32 v1, vcc, v2, v4
	v_addc_co_u32_e32 v2, vcc, v3, v5, vcc
	v_add_co_u32_e32 v1, vcc, s38, v1
	v_addc_co_u32_e32 v6, vcc, v2, v24, vcc
	v_mad_u64_u32 v[2:3], s[20:21], s24, v10, 0
	v_mov_b32_e32 v4, v3
	v_mad_u64_u32 v[4:5], s[20:21], s25, v10, v[4:5]
	v_mov_b32_e32 v3, v4
	v_lshlrev_b64 v[2:3], 3, v[2:3]
	v_add_co_u32_e32 v1, vcc, v1, v2
	v_addc_co_u32_e32 v2, vcc, v6, v3, vcc
	v_mov_b32_e32 v3, s23
	v_add_co_u32_e32 v24, vcc, s22, v1
	v_addc_co_u32_e32 v25, vcc, v3, v2, vcc
	v_mul_lo_u32 v1, s46, v26
	v_mul_lo_u32 v4, s33, v27
	v_mad_u64_u32 v[2:3], s[22:23], s33, v26, 0
	v_add3_u32 v3, v3, v4, v1
	v_mad_u64_u32 v[4:5], s[22:23], s34, v18, 0
	v_mov_b32_e32 v6, v5
	v_mad_u64_u32 v[6:7], s[22:23], s35, v18, v[6:7]
	v_mov_b32_e32 v5, v6
	v_lshlrev_b64 v[2:3], 7, v[2:3]
	v_lshlrev_b64 v[4:5], 3, v[4:5]
	v_add_co_u32_e32 v1, vcc, v2, v4
	s_load_dwordx2 s[36:37], s[2:3], 0x0
	v_addc_co_u32_e32 v26, vcc, v3, v5, vcc
	v_mad_u64_u32 v[4:5], s[22:23], s50, v10, 0
	v_mov_b32_e32 v6, v5
	v_mad_u64_u32 v[6:7], s[22:23], s51, v10, v[6:7]
	v_mov_b32_e32 v5, v6
	s_lshl_b64 s[8:9], s[26:27], 5
	s_lshl_b64 s[20:21], s[24:25], 5
	v_lshlrev_b64 v[4:5], 3, v[4:5]
	s_lshl_b64 s[22:23], s[48:49], 3
	v_add_co_u32_e32 v1, vcc, v1, v4
	s_waitcnt lgkmcnt(0)
	s_add_u32 s26, s36, s22
	v_addc_co_u32_e32 v4, vcc, v26, v5, vcc
	s_addc_u32 s27, s37, s23
	v_mov_b32_e32 v5, s27
	v_add_co_u32_e32 v26, vcc, s26, v1
	v_addc_co_u32_e32 v27, vcc, v5, v4, vcc
	v_mad_u64_u32 v[4:5], s[24:25], s34, v20, 0
	v_mov_b32_e32 v6, v5
	v_mad_u64_u32 v[6:7], s[24:25], s35, v20, v[6:7]
	v_mov_b32_e32 v5, v6
	v_lshlrev_b64 v[4:5], 3, v[4:5]
	v_add_co_u32_e32 v6, vcc, v2, v4
	v_addc_co_u32_e32 v5, vcc, v3, v5, vcc
	v_mad_u64_u32 v[2:3], s[24:25], s50, v0, 0
	v_mov_b32_e32 v4, v3
	v_lshl_or_b32 v30, v0, 2, v20
	v_mad_u64_u32 v[0:1], s[24:25], s51, v0, v[4:5]
	v_mov_b32_e32 v3, v0
	v_lshlrev_b64 v[0:1], 3, v[2:3]
	v_add_co_u32_e32 v0, vcc, v6, v0
	v_addc_co_u32_e32 v1, vcc, v5, v1, vcc
	v_mov_b32_e32 v2, s27
	v_add_co_u32_e32 v28, vcc, s26, v0
	v_addc_co_u32_e32 v29, vcc, v2, v1, vcc
	v_mbcnt_hi_u32_b32 v2, -1, v34
	v_pk_mov_b32 v[0:1], 0, 0
	v_and_or_b32 v2, v2, 64, v30
	v_cmp_lt_u64_e64 s[2:3], v[18:19], v[8:9]
	s_lshl_b64 s[22:23], s[50:51], 5
	s_lshl_b64 s[24:25], s[34:35], 5
	s_mov_b64 s[26:27], 0
	v_lshlrev_b32_e32 v35, 2, v2
	v_pk_mov_b32 v[2:3], v[0:1], v[0:1] op_sel:[0,1]
	v_pk_mov_b32 v[4:5], v[0:1], v[0:1] op_sel:[0,1]
	v_pk_mov_b32 v[6:7], v[0:1], v[0:1] op_sel:[0,1]
	s_branch .LBB42_6
.LBB42_3:                               ;   in Loop: Header=BB42_6 Depth=1
	s_or_b64 exec, exec, s[36:37]
.LBB42_4:                               ;   in Loop: Header=BB42_6 Depth=1
	s_or_b64 exec, exec, s[34:35]
	s_waitcnt vmcnt(0)
	ds_bpermute_b32 v32, v35, v32
	ds_bpermute_b32 v33, v35, v33
.LBB42_5:                               ;   in Loop: Header=BB42_6 Depth=1
	v_mov_b32_e32 v36, s9
	v_add_co_u32_e32 v22, vcc, s8, v22
	v_addc_co_u32_e32 v23, vcc, v23, v36, vcc
	v_mov_b32_e32 v36, s21
	v_add_co_u32_e32 v24, vcc, s20, v24
	s_waitcnt vmcnt(0) lgkmcnt(0)
	v_mfma_f64_16x16x4f64 v[0:7], v[30:31], v[32:33], v[0:7]
	s_add_u32 s26, s26, 4
	s_addc_u32 s27, s27, 0
	v_addc_co_u32_e32 v25, vcc, v25, v36, vcc
	v_mov_b32_e32 v36, s23
	v_add_co_u32_e32 v26, vcc, s22, v26
	v_addc_co_u32_e32 v27, vcc, v27, v36, vcc
	v_mov_b32_e32 v30, s25
	v_add_co_u32_e32 v28, vcc, s24, v28
	v_addc_co_u32_e32 v29, vcc, v29, v30, vcc
	v_pk_mov_b32 v[30:31], s[16:17], s[16:17] op_sel:[0,1]
	v_cmp_ge_i64_e32 vcc, s[26:27], v[30:31]
	s_cbranch_vccnz .LBB42_28
.LBB42_6:                               ; =>This Inner Loop Header: Depth=1
	s_and_b64 vcc, exec, s[18:19]
	s_cbranch_vccz .LBB42_18
; %bb.7:                                ;   in Loop: Header=BB42_6 Depth=1
	v_pk_mov_b32 v[30:31], 0, 0
	s_and_saveexec_b64 s[34:35], s[2:3]
	s_cbranch_execz .LBB42_11
; %bb.8:                                ;   in Loop: Header=BB42_6 Depth=1
	v_mov_b32_e32 v31, s27
	v_add_co_u32_e32 v30, vcc, s26, v10
	v_addc_co_u32_e32 v31, vcc, 0, v31, vcc
	v_cmp_gt_i64_e32 vcc, s[16:17], v[30:31]
	v_pk_mov_b32 v[30:31], 0, 0
	s_and_saveexec_b64 s[36:37], vcc
	s_cbranch_execz .LBB42_10
; %bb.9:                                ;   in Loop: Header=BB42_6 Depth=1
	global_load_dwordx2 v[30:31], v[24:25], off
.LBB42_10:                              ;   in Loop: Header=BB42_6 Depth=1
	s_or_b64 exec, exec, s[36:37]
.LBB42_11:                              ;   in Loop: Header=BB42_6 Depth=1
	s_or_b64 exec, exec, s[34:35]
	s_waitcnt vmcnt(0)
	ds_bpermute_b32 v30, v35, v30
	ds_bpermute_b32 v31, v35, v31
.LBB42_12:                              ;   in Loop: Header=BB42_6 Depth=1
	s_and_b64 vcc, exec, s[30:31]
	s_cbranch_vccz .LBB42_24
.LBB42_13:                              ;   in Loop: Header=BB42_6 Depth=1
	v_pk_mov_b32 v[32:33], 0, 0
	s_and_saveexec_b64 s[34:35], s[6:7]
	s_cbranch_execz .LBB42_17
; %bb.14:                               ;   in Loop: Header=BB42_6 Depth=1
	v_mov_b32_e32 v33, s27
	v_add_co_u32_e32 v32, vcc, s26, v20
	v_addc_co_u32_e32 v33, vcc, 0, v33, vcc
	v_cmp_gt_i64_e32 vcc, s[16:17], v[32:33]
	v_pk_mov_b32 v[32:33], 0, 0
	s_and_saveexec_b64 s[36:37], vcc
	s_cbranch_execz .LBB42_16
; %bb.15:                               ;   in Loop: Header=BB42_6 Depth=1
	global_load_dwordx2 v[32:33], v[28:29], off
.LBB42_16:                              ;   in Loop: Header=BB42_6 Depth=1
	s_or_b64 exec, exec, s[36:37]
.LBB42_17:                              ;   in Loop: Header=BB42_6 Depth=1
	s_or_b64 exec, exec, s[34:35]
	s_cbranch_execnz .LBB42_5
	s_branch .LBB42_25
.LBB42_18:                              ;   in Loop: Header=BB42_6 Depth=1
                                        ; implicit-def: $vgpr30_vgpr31
	s_cbranch_execz .LBB42_12
; %bb.19:                               ;   in Loop: Header=BB42_6 Depth=1
	s_waitcnt lgkmcnt(0)
	v_pk_mov_b32 v[30:31], 0, 0
	s_and_saveexec_b64 s[34:35], s[4:5]
	s_cbranch_execz .LBB42_23
; %bb.20:                               ;   in Loop: Header=BB42_6 Depth=1
	v_mov_b32_e32 v31, s27
	v_add_co_u32_e32 v30, vcc, s26, v20
	v_addc_co_u32_e32 v31, vcc, 0, v31, vcc
	v_cmp_gt_i64_e32 vcc, s[16:17], v[30:31]
	v_pk_mov_b32 v[30:31], 0, 0
	s_and_saveexec_b64 s[36:37], vcc
	s_cbranch_execz .LBB42_22
; %bb.21:                               ;   in Loop: Header=BB42_6 Depth=1
	global_load_dwordx2 v[30:31], v[22:23], off
.LBB42_22:                              ;   in Loop: Header=BB42_6 Depth=1
	s_or_b64 exec, exec, s[36:37]
.LBB42_23:                              ;   in Loop: Header=BB42_6 Depth=1
	s_or_b64 exec, exec, s[34:35]
	s_and_b64 vcc, exec, s[30:31]
	s_cbranch_vccnz .LBB42_13
.LBB42_24:                              ;   in Loop: Header=BB42_6 Depth=1
                                        ; implicit-def: $vgpr32_vgpr33
.LBB42_25:                              ;   in Loop: Header=BB42_6 Depth=1
	s_waitcnt vmcnt(0)
	v_pk_mov_b32 v[32:33], 0, 0
	s_and_saveexec_b64 s[34:35], s[0:1]
	s_cbranch_execz .LBB42_4
; %bb.26:                               ;   in Loop: Header=BB42_6 Depth=1
	v_mov_b32_e32 v33, s27
	v_add_co_u32_e32 v32, vcc, s26, v10
	v_addc_co_u32_e32 v33, vcc, 0, v33, vcc
	v_cmp_gt_i64_e32 vcc, s[16:17], v[32:33]
	v_pk_mov_b32 v[32:33], 0, 0
	s_and_saveexec_b64 s[36:37], vcc
	s_cbranch_execz .LBB42_3
; %bb.27:                               ;   in Loop: Header=BB42_6 Depth=1
	global_load_dwordx2 v[32:33], v[26:27], off
	s_branch .LBB42_3
.LBB42_28:
	s_lshl_b64 s[0:1], s[40:41], 3
	s_waitcnt lgkmcnt(0)
	s_add_u32 s2, s14, s0
	s_addc_u32 s3, s15, s1
	v_mul_lo_u32 v20, v15, s28
	v_mul_lo_u32 v22, v14, s29
	v_mad_u64_u32 v[14:15], s[0:1], v14, s28, 0
	v_add3_u32 v15, v15, v22, v20
	v_mul_lo_u32 v20, v13, s42
	v_mul_lo_u32 v22, v12, s43
	v_mad_u64_u32 v[12:13], s[0:1], v12, s42, 0
	v_lshlrev_b64 v[14:15], 3, v[14:15]
	v_add3_u32 v13, v13, v22, v20
	v_mov_b32_e32 v20, s3
	v_add_co_u32_e32 v14, vcc, s2, v14
	v_addc_co_u32_e32 v15, vcc, v20, v15, vcc
	v_lshlrev_b64 v[12:13], 3, v[12:13]
	v_add_co_u32_e32 v20, vcc, v14, v12
	v_lshl_or_b32 v12, v21, 4, v18
	v_addc_co_u32_e32 v15, vcc, v15, v13, vcc
	v_mbcnt_hi_u32_b32 v13, -1, v34
	v_and_b32_e32 v12, 63, v12
	v_and_or_b32 v12, v13, 64, v12
	v_lshlrev_b32_e32 v14, 2, v12
	v_mad_u64_u32 v[12:13], s[0:1], v18, s28, 0
	v_cmp_lt_u64_e32 vcc, v[18:19], v[16:17]
	v_mov_b32_e32 v16, v13
	v_mad_u64_u32 v[16:17], s[0:1], v18, s29, v[16:17]
	v_mov_b32_e32 v13, v16
	v_lshlrev_b64 v[12:13], 3, v[12:13]
	ds_bpermute_b32 v0, v14, v0
	ds_bpermute_b32 v1, v14, v1
	v_add_co_u32_e64 v12, s[0:1], v20, v12
	v_addc_co_u32_e64 v13, s[0:1], v15, v13, s[0:1]
	v_cmp_lt_u64_e64 s[0:1], v[10:11], v[8:9]
	s_and_b64 s[0:1], vcc, s[0:1]
	s_and_saveexec_b64 s[2:3], s[0:1]
	s_cbranch_execz .LBB42_30
; %bb.29:
	v_mad_u64_u32 v[16:17], s[0:1], v10, s42, 0
	v_mov_b32_e32 v18, v17
	v_mad_u64_u32 v[18:19], s[0:1], v10, s43, v[18:19]
	v_mov_b32_e32 v17, v18
	v_lshlrev_b64 v[16:17], 3, v[16:17]
	v_add_co_u32_e64 v16, s[0:1], v12, v16
	v_addc_co_u32_e64 v17, s[0:1], v13, v17, s[0:1]
	global_load_dwordx2 v[18:19], v[16:17], off
	s_waitcnt vmcnt(0)
	v_mul_f64 v[18:19], s[12:13], v[18:19]
	s_waitcnt lgkmcnt(0)
	v_fmac_f64_e32 v[18:19], s[10:11], v[0:1]
	global_store_dwordx2 v[16:17], v[18:19], off
.LBB42_30:
	s_or_b64 exec, exec, s[2:3]
	s_waitcnt lgkmcnt(1)
	ds_bpermute_b32 v0, v14, v2
	s_waitcnt lgkmcnt(1)
	ds_bpermute_b32 v1, v14, v3
	v_or_b32_e32 v2, 4, v10
	v_mov_b32_e32 v3, v11
	v_cmp_lt_u64_e64 s[0:1], v[2:3], v[8:9]
	s_and_b64 s[0:1], vcc, s[0:1]
	s_and_saveexec_b64 s[2:3], s[0:1]
	s_cbranch_execz .LBB42_32
; %bb.31:
	v_mad_u64_u32 v[16:17], s[0:1], v2, s42, 0
	v_mov_b32_e32 v18, v17
	v_mad_u64_u32 v[2:3], s[0:1], v2, s43, v[18:19]
	v_mov_b32_e32 v17, v2
	v_lshlrev_b64 v[2:3], 3, v[16:17]
	v_add_co_u32_e64 v2, s[0:1], v12, v2
	v_addc_co_u32_e64 v3, s[0:1], v13, v3, s[0:1]
	global_load_dwordx2 v[16:17], v[2:3], off
	s_waitcnt vmcnt(0)
	v_mul_f64 v[16:17], s[12:13], v[16:17]
	s_waitcnt lgkmcnt(0)
	v_fmac_f64_e32 v[16:17], s[10:11], v[0:1]
	global_store_dwordx2 v[2:3], v[16:17], off
.LBB42_32:
	s_or_b64 exec, exec, s[2:3]
	s_waitcnt lgkmcnt(1)
	ds_bpermute_b32 v0, v14, v4
	s_waitcnt lgkmcnt(1)
	ds_bpermute_b32 v1, v14, v5
	v_or_b32_e32 v2, 8, v10
	v_mov_b32_e32 v3, v11
	v_cmp_lt_u64_e64 s[0:1], v[2:3], v[8:9]
	s_and_b64 s[0:1], vcc, s[0:1]
	s_and_saveexec_b64 s[2:3], s[0:1]
	s_cbranch_execz .LBB42_34
; %bb.33:
	v_mad_u64_u32 v[4:5], s[0:1], v2, s42, 0
	v_mov_b32_e32 v16, v5
	v_mad_u64_u32 v[2:3], s[0:1], v2, s43, v[16:17]
	v_mov_b32_e32 v5, v2
	v_lshlrev_b64 v[2:3], 3, v[4:5]
	v_add_co_u32_e64 v2, s[0:1], v12, v2
	v_addc_co_u32_e64 v3, s[0:1], v13, v3, s[0:1]
	global_load_dwordx2 v[4:5], v[2:3], off
	s_waitcnt vmcnt(0)
	v_mul_f64 v[4:5], s[12:13], v[4:5]
	s_waitcnt lgkmcnt(0)
	v_fmac_f64_e32 v[4:5], s[10:11], v[0:1]
	global_store_dwordx2 v[2:3], v[4:5], off
.LBB42_34:
	s_or_b64 exec, exec, s[2:3]
	s_waitcnt lgkmcnt(1)
	ds_bpermute_b32 v0, v14, v6
	s_waitcnt lgkmcnt(1)
	ds_bpermute_b32 v1, v14, v7
	v_or_b32_e32 v10, 12, v10
	v_cmp_lt_u64_e64 s[0:1], v[10:11], v[8:9]
	s_and_b64 s[0:1], vcc, s[0:1]
	s_and_b64 exec, exec, s[0:1]
	s_cbranch_execz .LBB42_36
; %bb.35:
	v_mad_u64_u32 v[2:3], s[0:1], v10, s42, 0
	v_mov_b32_e32 v4, v3
	v_mad_u64_u32 v[4:5], s[0:1], v10, s43, v[4:5]
	v_mov_b32_e32 v3, v4
	v_lshlrev_b64 v[2:3], 3, v[2:3]
	v_add_co_u32_e32 v2, vcc, v12, v2
	v_addc_co_u32_e32 v3, vcc, v13, v3, vcc
	global_load_dwordx2 v[4:5], v[2:3], off
	s_waitcnt vmcnt(0)
	v_mul_f64 v[4:5], s[12:13], v[4:5]
	s_waitcnt lgkmcnt(0)
	v_fmac_f64_e32 v[4:5], s[10:11], v[0:1]
	global_store_dwordx2 v[2:3], v[4:5], off
.LBB42_36:
	s_endpgm
	.section	.rodata,"a",@progbits
	.p2align	6, 0x0
	.amdhsa_kernel _ZN9rocsolver6v33100L16mfma_gemm_kernelIdlPKdPdPKS4_S6_EEv18rocblas_operation_S7_T0_S8_S8_T1_T2_lS8_S8_lT3_lS8_S8_lS9_T4_lS8_S8_l
		.amdhsa_group_segment_fixed_size 0
		.amdhsa_private_segment_fixed_size 0
		.amdhsa_kernarg_size 424
		.amdhsa_user_sgpr_count 6
		.amdhsa_user_sgpr_private_segment_buffer 1
		.amdhsa_user_sgpr_dispatch_ptr 0
		.amdhsa_user_sgpr_queue_ptr 0
		.amdhsa_user_sgpr_kernarg_segment_ptr 1
		.amdhsa_user_sgpr_dispatch_id 0
		.amdhsa_user_sgpr_flat_scratch_init 0
		.amdhsa_user_sgpr_kernarg_preload_length 0
		.amdhsa_user_sgpr_kernarg_preload_offset 0
		.amdhsa_user_sgpr_private_segment_size 0
		.amdhsa_uses_dynamic_stack 0
		.amdhsa_system_sgpr_private_segment_wavefront_offset 0
		.amdhsa_system_sgpr_workgroup_id_x 1
		.amdhsa_system_sgpr_workgroup_id_y 1
		.amdhsa_system_sgpr_workgroup_id_z 1
		.amdhsa_system_sgpr_workgroup_info 0
		.amdhsa_system_vgpr_workitem_id 1
		.amdhsa_next_free_vgpr 37
		.amdhsa_next_free_sgpr 52
		.amdhsa_accum_offset 40
		.amdhsa_reserve_vcc 1
		.amdhsa_reserve_flat_scratch 0
		.amdhsa_float_round_mode_32 0
		.amdhsa_float_round_mode_16_64 0
		.amdhsa_float_denorm_mode_32 3
		.amdhsa_float_denorm_mode_16_64 3
		.amdhsa_dx10_clamp 1
		.amdhsa_ieee_mode 1
		.amdhsa_fp16_overflow 0
		.amdhsa_tg_split 0
		.amdhsa_exception_fp_ieee_invalid_op 0
		.amdhsa_exception_fp_denorm_src 0
		.amdhsa_exception_fp_ieee_div_zero 0
		.amdhsa_exception_fp_ieee_overflow 0
		.amdhsa_exception_fp_ieee_underflow 0
		.amdhsa_exception_fp_ieee_inexact 0
		.amdhsa_exception_int_div_zero 0
	.end_amdhsa_kernel
	.section	.text._ZN9rocsolver6v33100L16mfma_gemm_kernelIdlPKdPdPKS4_S6_EEv18rocblas_operation_S7_T0_S8_S8_T1_T2_lS8_S8_lT3_lS8_S8_lS9_T4_lS8_S8_l,"axG",@progbits,_ZN9rocsolver6v33100L16mfma_gemm_kernelIdlPKdPdPKS4_S6_EEv18rocblas_operation_S7_T0_S8_S8_T1_T2_lS8_S8_lT3_lS8_S8_lS9_T4_lS8_S8_l,comdat
.Lfunc_end42:
	.size	_ZN9rocsolver6v33100L16mfma_gemm_kernelIdlPKdPdPKS4_S6_EEv18rocblas_operation_S7_T0_S8_S8_T1_T2_lS8_S8_lT3_lS8_S8_lS9_T4_lS8_S8_l, .Lfunc_end42-_ZN9rocsolver6v33100L16mfma_gemm_kernelIdlPKdPdPKS4_S6_EEv18rocblas_operation_S7_T0_S8_S8_T1_T2_lS8_S8_lT3_lS8_S8_lS9_T4_lS8_S8_l
                                        ; -- End function
	.section	.AMDGPU.csdata,"",@progbits
; Kernel info:
; codeLenInByte = 2204
; NumSgprs: 56
; NumVgprs: 37
; NumAgprs: 0
; TotalNumVgprs: 37
; ScratchSize: 0
; MemoryBound: 0
; FloatMode: 240
; IeeeMode: 1
; LDSByteSize: 0 bytes/workgroup (compile time only)
; SGPRBlocks: 6
; VGPRBlocks: 4
; NumSGPRsForWavesPerEU: 56
; NumVGPRsForWavesPerEU: 37
; AccumOffset: 40
; Occupancy: 8
; WaveLimiterHint : 1
; COMPUTE_PGM_RSRC2:SCRATCH_EN: 0
; COMPUTE_PGM_RSRC2:USER_SGPR: 6
; COMPUTE_PGM_RSRC2:TRAP_HANDLER: 0
; COMPUTE_PGM_RSRC2:TGID_X_EN: 1
; COMPUTE_PGM_RSRC2:TGID_Y_EN: 1
; COMPUTE_PGM_RSRC2:TGID_Z_EN: 1
; COMPUTE_PGM_RSRC2:TIDIG_COMP_CNT: 1
; COMPUTE_PGM_RSRC3_GFX90A:ACCUM_OFFSET: 9
; COMPUTE_PGM_RSRC3_GFX90A:TG_SPLIT: 0
	.section	.text._ZN9rocsolver6v33100L16mfma_gemm_kernelIdldPdPKS2_S4_EEv18rocblas_operation_S5_T0_S6_S6_T1_T2_lS6_S6_lT3_lS6_S6_lS7_T4_lS6_S6_l,"axG",@progbits,_ZN9rocsolver6v33100L16mfma_gemm_kernelIdldPdPKS2_S4_EEv18rocblas_operation_S5_T0_S6_S6_T1_T2_lS6_S6_lT3_lS6_S6_lS7_T4_lS6_S6_l,comdat
	.globl	_ZN9rocsolver6v33100L16mfma_gemm_kernelIdldPdPKS2_S4_EEv18rocblas_operation_S5_T0_S6_S6_T1_T2_lS6_S6_lT3_lS6_S6_lS7_T4_lS6_S6_l ; -- Begin function _ZN9rocsolver6v33100L16mfma_gemm_kernelIdldPdPKS2_S4_EEv18rocblas_operation_S5_T0_S6_S6_T1_T2_lS6_S6_lT3_lS6_S6_lS7_T4_lS6_S6_l
	.p2align	8
	.type	_ZN9rocsolver6v33100L16mfma_gemm_kernelIdldPdPKS2_S4_EEv18rocblas_operation_S5_T0_S6_S6_T1_T2_lS6_S6_lT3_lS6_S6_lS7_T4_lS6_S6_l,@function
_ZN9rocsolver6v33100L16mfma_gemm_kernelIdldPdPKS2_S4_EEv18rocblas_operation_S5_T0_S6_S6_T1_T2_lS6_S6_lT3_lS6_S6_lS7_T4_lS6_S6_l: ; @_ZN9rocsolver6v33100L16mfma_gemm_kernelIdldPdPKS2_S4_EEv18rocblas_operation_S5_T0_S6_S6_T1_T2_lS6_S6_lT3_lS6_S6_lS7_T4_lS6_S6_l
; %bb.0:
	s_load_dword s0, s[4:5], 0xb4
	s_load_dwordx16 s[12:27], s[4:5], 0x8
	v_and_b32_e32 v1, 0x3ff, v0
	v_lshrrev_b32_e32 v8, 6, v1
	v_mov_b32_e32 v9, 0
	s_waitcnt lgkmcnt(0)
	s_lshr_b32 s2, s0, 16
	s_bfe_u32 s0, s0, 0xa0006
	v_bfe_u32 v2, v0, 10, 10
	v_mov_b32_e32 v0, s6
	v_mov_b32_e32 v3, v9
	v_mad_u64_u32 v[22:23], s[0:1], s0, v0, v[8:9]
	v_mov_b32_e32 v0, s7
	v_mad_u64_u32 v[26:27], s[0:1], s2, v0, v[2:3]
	v_lshlrev_b64 v[12:13], 4, v[22:23]
	v_lshlrev_b64 v[14:15], 4, v[26:27]
	v_cmp_gt_i64_e32 vcc, s[12:13], v[12:13]
	v_cmp_gt_i64_e64 s[0:1], s[14:15], v[14:15]
	s_and_b64 s[0:1], vcc, s[0:1]
	s_and_saveexec_b64 s[2:3], s[0:1]
	s_cbranch_execz .LBB43_36
; %bb.1:
	s_load_dwordx8 s[36:43], s[4:5], 0x78
	s_load_dwordx2 s[10:11], s[4:5], 0x98
	v_add_co_u32_e32 v2, vcc, 16, v12
	v_addc_co_u32_e32 v3, vcc, 0, v13, vcc
	s_and_b32 s0, s12, 15
	s_mov_b32 s9, 0
	v_mov_b32_e32 v0, s0
	v_cmp_lt_u64_e32 vcc, s[12:13], v[2:3]
	s_and_b32 s0, s14, 15
	s_lshl_b64 s[2:3], s[8:9], 3
	v_cndmask_b32_e32 v8, 16, v0, vcc
	v_mov_b32_e32 v0, s0
	s_waitcnt lgkmcnt(0)
	s_add_u32 s0, s38, s2
	s_addc_u32 s1, s39, s3
	v_add_co_u32_e32 v2, vcc, 16, v14
	s_load_dwordx2 s[12:13], s[0:1], 0x0
	v_addc_co_u32_e32 v3, vcc, 0, v15, vcc
	v_cmp_lt_u64_e32 vcc, s[14:15], v[2:3]
	v_cndmask_b32_e32 v16, 16, v0, vcc
	v_mov_b32_e32 v17, v9
	v_bfe_u32 v18, v1, 2, 4
	v_mov_b32_e32 v19, v9
	v_cmp_lt_i64_e64 s[0:1], s[16:17], 1
	v_pk_mov_b32 v[6:7], 0, 0
	v_and_b32_e32 v21, 63, v1
	v_and_b32_e32 v10, 3, v1
	v_mov_b32_e32 v11, v9
	s_and_b64 vcc, exec, s[0:1]
	v_cmp_lt_u64_e64 s[0:1], v[18:19], v[16:17]
	v_mbcnt_lo_u32_b32 v34, -1, 0
	v_pk_mov_b32 v[4:5], v[6:7], v[6:7] op_sel:[0,1]
	v_pk_mov_b32 v[2:3], v[6:7], v[6:7] op_sel:[0,1]
	;; [unrolled: 1-line block ×3, first 2 shown]
	s_cbranch_vccnz .LBB43_28
; %bb.2:
	s_load_dwordx2 s[6:7], s[4:5], 0x0
	s_load_dwordx8 s[44:51], s[4:5], 0x48
	s_load_dwordx2 s[30:31], s[4:5], 0x68
	v_mov_b32_e32 v1, 0
	v_and_b32_e32 v0, 15, v21
	s_waitcnt lgkmcnt(0)
	s_cmpk_lg_i32 s6, 0x6f
	s_cselect_b64 s[14:15], -1, 0
	s_cmpk_lg_i32 s7, 0x6f
	s_cselect_b64 s[28:29], -1, 0
	s_add_u32 s2, s46, s2
	s_addc_u32 s3, s47, s3
	s_cmpk_eq_i32 s7, 0x6f
	s_cselect_b32 s33, s30, s50
	s_cselect_b32 s46, s31, s51
	s_cmpk_eq_i32 s6, 0x6f
	s_cselect_b32 s9, s24, s26
	s_cselect_b32 s38, s25, s27
	v_lshrrev_b32_e32 v20, 4, v21
	v_cmp_lt_u64_e64 s[4:5], v[0:1], v[8:9]
	v_cmp_lt_u64_e64 s[6:7], v[0:1], v[16:17]
	v_mul_lo_u32 v1, s38, v22
	v_mul_lo_u32 v4, s9, v23
	v_mad_u64_u32 v[2:3], s[38:39], s9, v22, 0
	v_add3_u32 v3, v3, v4, v1
	v_mad_u64_u32 v[4:5], s[38:39], s26, v20, 0
	v_mov_b32_e32 v6, v5
	v_mad_u64_u32 v[6:7], s[38:39], s27, v20, v[6:7]
	v_mov_b32_e32 v5, v6
	v_lshlrev_b64 v[2:3], 7, v[2:3]
	v_lshlrev_b64 v[4:5], 3, v[4:5]
	s_mul_i32 s9, s45, s8
	s_mul_hi_u32 s38, s44, s8
	v_add_co_u32_e32 v1, vcc, v2, v4
	s_add_i32 s9, s38, s9
	s_mul_i32 s8, s44, s8
	v_addc_co_u32_e32 v4, vcc, v3, v5, vcc
	s_lshl_b64 s[38:39], s[8:9], 3
	v_mov_b32_e32 v24, s39
	v_add_co_u32_e32 v1, vcc, s38, v1
	v_addc_co_u32_e32 v22, vcc, v4, v24, vcc
	v_mad_u64_u32 v[4:5], s[8:9], s24, v0, 0
	v_mov_b32_e32 v6, v5
	v_mad_u64_u32 v[6:7], s[8:9], s25, v0, v[6:7]
	v_mov_b32_e32 v5, v6
	v_lshlrev_b64 v[4:5], 3, v[4:5]
	s_lshl_b64 s[8:9], s[22:23], 3
	v_add_co_u32_e32 v1, vcc, v1, v4
	s_add_u32 s22, s20, s8
	v_addc_co_u32_e32 v4, vcc, v22, v5, vcc
	s_addc_u32 s23, s21, s9
	v_mov_b32_e32 v5, s23
	v_add_co_u32_e32 v22, vcc, s22, v1
	v_addc_co_u32_e32 v23, vcc, v5, v4, vcc
	v_mad_u64_u32 v[4:5], s[20:21], s26, v18, 0
	v_mov_b32_e32 v6, v5
	v_mad_u64_u32 v[6:7], s[20:21], s27, v18, v[6:7]
	v_mov_b32_e32 v5, v6
	v_lshlrev_b64 v[4:5], 3, v[4:5]
	v_add_co_u32_e32 v1, vcc, v2, v4
	v_addc_co_u32_e32 v2, vcc, v3, v5, vcc
	v_add_co_u32_e32 v1, vcc, s38, v1
	v_addc_co_u32_e32 v6, vcc, v2, v24, vcc
	v_mad_u64_u32 v[2:3], s[20:21], s24, v10, 0
	v_mov_b32_e32 v4, v3
	v_mad_u64_u32 v[4:5], s[20:21], s25, v10, v[4:5]
	v_mov_b32_e32 v3, v4
	v_lshlrev_b64 v[2:3], 3, v[2:3]
	v_add_co_u32_e32 v1, vcc, v1, v2
	v_addc_co_u32_e32 v2, vcc, v6, v3, vcc
	v_mov_b32_e32 v3, s23
	v_add_co_u32_e32 v24, vcc, s22, v1
	v_addc_co_u32_e32 v25, vcc, v3, v2, vcc
	v_mul_lo_u32 v1, s46, v26
	v_mul_lo_u32 v4, s33, v27
	v_mad_u64_u32 v[2:3], s[22:23], s33, v26, 0
	v_add3_u32 v3, v3, v4, v1
	v_mad_u64_u32 v[4:5], s[22:23], s30, v18, 0
	v_mov_b32_e32 v6, v5
	v_mad_u64_u32 v[6:7], s[22:23], s31, v18, v[6:7]
	v_mov_b32_e32 v5, v6
	v_lshlrev_b64 v[2:3], 7, v[2:3]
	v_lshlrev_b64 v[4:5], 3, v[4:5]
	v_add_co_u32_e32 v1, vcc, v2, v4
	s_load_dwordx2 s[34:35], s[2:3], 0x0
	v_addc_co_u32_e32 v26, vcc, v3, v5, vcc
	v_mad_u64_u32 v[4:5], s[22:23], s50, v10, 0
	v_mov_b32_e32 v6, v5
	v_mad_u64_u32 v[6:7], s[22:23], s51, v10, v[6:7]
	v_mov_b32_e32 v5, v6
	s_lshl_b64 s[8:9], s[26:27], 5
	s_lshl_b64 s[20:21], s[24:25], 5
	v_lshlrev_b64 v[4:5], 3, v[4:5]
	s_lshl_b64 s[22:23], s[48:49], 3
	v_add_co_u32_e32 v1, vcc, v1, v4
	s_waitcnt lgkmcnt(0)
	s_add_u32 s26, s34, s22
	v_addc_co_u32_e32 v4, vcc, v26, v5, vcc
	s_addc_u32 s27, s35, s23
	v_mov_b32_e32 v5, s27
	v_add_co_u32_e32 v26, vcc, s26, v1
	v_addc_co_u32_e32 v27, vcc, v5, v4, vcc
	v_mad_u64_u32 v[4:5], s[24:25], s30, v20, 0
	v_mov_b32_e32 v6, v5
	v_mad_u64_u32 v[6:7], s[24:25], s31, v20, v[6:7]
	v_mov_b32_e32 v5, v6
	v_lshlrev_b64 v[4:5], 3, v[4:5]
	v_add_co_u32_e32 v6, vcc, v2, v4
	v_addc_co_u32_e32 v5, vcc, v3, v5, vcc
	v_mad_u64_u32 v[2:3], s[24:25], s50, v0, 0
	v_mov_b32_e32 v4, v3
	v_lshl_or_b32 v30, v0, 2, v20
	v_mad_u64_u32 v[0:1], s[24:25], s51, v0, v[4:5]
	v_mov_b32_e32 v3, v0
	v_lshlrev_b64 v[0:1], 3, v[2:3]
	v_add_co_u32_e32 v0, vcc, v6, v0
	v_addc_co_u32_e32 v1, vcc, v5, v1, vcc
	v_mov_b32_e32 v2, s27
	v_add_co_u32_e32 v28, vcc, s26, v0
	v_addc_co_u32_e32 v29, vcc, v2, v1, vcc
	v_mbcnt_hi_u32_b32 v2, -1, v34
	v_pk_mov_b32 v[0:1], 0, 0
	v_and_or_b32 v2, v2, 64, v30
	v_cmp_lt_u64_e64 s[2:3], v[18:19], v[8:9]
	s_lshl_b64 s[22:23], s[50:51], 5
	s_lshl_b64 s[24:25], s[30:31], 5
	s_mov_b64 s[26:27], 0
	v_lshlrev_b32_e32 v35, 2, v2
	v_pk_mov_b32 v[2:3], v[0:1], v[0:1] op_sel:[0,1]
	v_pk_mov_b32 v[4:5], v[0:1], v[0:1] op_sel:[0,1]
	;; [unrolled: 1-line block ×3, first 2 shown]
	s_branch .LBB43_6
.LBB43_3:                               ;   in Loop: Header=BB43_6 Depth=1
	s_or_b64 exec, exec, s[34:35]
.LBB43_4:                               ;   in Loop: Header=BB43_6 Depth=1
	s_or_b64 exec, exec, s[30:31]
	s_waitcnt vmcnt(0)
	ds_bpermute_b32 v32, v35, v32
	ds_bpermute_b32 v33, v35, v33
.LBB43_5:                               ;   in Loop: Header=BB43_6 Depth=1
	v_mov_b32_e32 v36, s9
	v_add_co_u32_e32 v22, vcc, s8, v22
	v_addc_co_u32_e32 v23, vcc, v23, v36, vcc
	v_mov_b32_e32 v36, s21
	v_add_co_u32_e32 v24, vcc, s20, v24
	s_waitcnt vmcnt(0) lgkmcnt(0)
	v_mfma_f64_16x16x4f64 v[0:7], v[30:31], v[32:33], v[0:7]
	s_add_u32 s26, s26, 4
	s_addc_u32 s27, s27, 0
	v_addc_co_u32_e32 v25, vcc, v25, v36, vcc
	v_mov_b32_e32 v36, s23
	v_add_co_u32_e32 v26, vcc, s22, v26
	v_addc_co_u32_e32 v27, vcc, v27, v36, vcc
	v_mov_b32_e32 v30, s25
	v_add_co_u32_e32 v28, vcc, s24, v28
	v_addc_co_u32_e32 v29, vcc, v29, v30, vcc
	v_pk_mov_b32 v[30:31], s[16:17], s[16:17] op_sel:[0,1]
	v_cmp_ge_i64_e32 vcc, s[26:27], v[30:31]
	s_cbranch_vccnz .LBB43_28
.LBB43_6:                               ; =>This Inner Loop Header: Depth=1
	s_and_b64 vcc, exec, s[14:15]
	s_cbranch_vccz .LBB43_18
; %bb.7:                                ;   in Loop: Header=BB43_6 Depth=1
	v_pk_mov_b32 v[30:31], 0, 0
	s_and_saveexec_b64 s[30:31], s[2:3]
	s_cbranch_execz .LBB43_11
; %bb.8:                                ;   in Loop: Header=BB43_6 Depth=1
	v_mov_b32_e32 v31, s27
	v_add_co_u32_e32 v30, vcc, s26, v10
	v_addc_co_u32_e32 v31, vcc, 0, v31, vcc
	v_cmp_gt_i64_e32 vcc, s[16:17], v[30:31]
	v_pk_mov_b32 v[30:31], 0, 0
	s_and_saveexec_b64 s[34:35], vcc
	s_cbranch_execz .LBB43_10
; %bb.9:                                ;   in Loop: Header=BB43_6 Depth=1
	global_load_dwordx2 v[30:31], v[24:25], off
.LBB43_10:                              ;   in Loop: Header=BB43_6 Depth=1
	s_or_b64 exec, exec, s[34:35]
.LBB43_11:                              ;   in Loop: Header=BB43_6 Depth=1
	s_or_b64 exec, exec, s[30:31]
	s_waitcnt vmcnt(0)
	ds_bpermute_b32 v30, v35, v30
	ds_bpermute_b32 v31, v35, v31
.LBB43_12:                              ;   in Loop: Header=BB43_6 Depth=1
	s_and_b64 vcc, exec, s[28:29]
	s_cbranch_vccz .LBB43_24
.LBB43_13:                              ;   in Loop: Header=BB43_6 Depth=1
	v_pk_mov_b32 v[32:33], 0, 0
	s_and_saveexec_b64 s[30:31], s[6:7]
	s_cbranch_execz .LBB43_17
; %bb.14:                               ;   in Loop: Header=BB43_6 Depth=1
	v_mov_b32_e32 v33, s27
	v_add_co_u32_e32 v32, vcc, s26, v20
	v_addc_co_u32_e32 v33, vcc, 0, v33, vcc
	v_cmp_gt_i64_e32 vcc, s[16:17], v[32:33]
	v_pk_mov_b32 v[32:33], 0, 0
	s_and_saveexec_b64 s[34:35], vcc
	s_cbranch_execz .LBB43_16
; %bb.15:                               ;   in Loop: Header=BB43_6 Depth=1
	global_load_dwordx2 v[32:33], v[28:29], off
.LBB43_16:                              ;   in Loop: Header=BB43_6 Depth=1
	s_or_b64 exec, exec, s[34:35]
.LBB43_17:                              ;   in Loop: Header=BB43_6 Depth=1
	s_or_b64 exec, exec, s[30:31]
	s_cbranch_execnz .LBB43_5
	s_branch .LBB43_25
.LBB43_18:                              ;   in Loop: Header=BB43_6 Depth=1
                                        ; implicit-def: $vgpr30_vgpr31
	s_cbranch_execz .LBB43_12
; %bb.19:                               ;   in Loop: Header=BB43_6 Depth=1
	s_waitcnt lgkmcnt(0)
	v_pk_mov_b32 v[30:31], 0, 0
	s_and_saveexec_b64 s[30:31], s[4:5]
	s_cbranch_execz .LBB43_23
; %bb.20:                               ;   in Loop: Header=BB43_6 Depth=1
	v_mov_b32_e32 v31, s27
	v_add_co_u32_e32 v30, vcc, s26, v20
	v_addc_co_u32_e32 v31, vcc, 0, v31, vcc
	v_cmp_gt_i64_e32 vcc, s[16:17], v[30:31]
	v_pk_mov_b32 v[30:31], 0, 0
	s_and_saveexec_b64 s[34:35], vcc
	s_cbranch_execz .LBB43_22
; %bb.21:                               ;   in Loop: Header=BB43_6 Depth=1
	global_load_dwordx2 v[30:31], v[22:23], off
.LBB43_22:                              ;   in Loop: Header=BB43_6 Depth=1
	s_or_b64 exec, exec, s[34:35]
.LBB43_23:                              ;   in Loop: Header=BB43_6 Depth=1
	s_or_b64 exec, exec, s[30:31]
	s_and_b64 vcc, exec, s[28:29]
	s_cbranch_vccnz .LBB43_13
.LBB43_24:                              ;   in Loop: Header=BB43_6 Depth=1
                                        ; implicit-def: $vgpr32_vgpr33
.LBB43_25:                              ;   in Loop: Header=BB43_6 Depth=1
	s_waitcnt vmcnt(0)
	v_pk_mov_b32 v[32:33], 0, 0
	s_and_saveexec_b64 s[30:31], s[0:1]
	s_cbranch_execz .LBB43_4
; %bb.26:                               ;   in Loop: Header=BB43_6 Depth=1
	v_mov_b32_e32 v33, s27
	v_add_co_u32_e32 v32, vcc, s26, v10
	v_addc_co_u32_e32 v33, vcc, 0, v33, vcc
	v_cmp_gt_i64_e32 vcc, s[16:17], v[32:33]
	v_pk_mov_b32 v[32:33], 0, 0
	s_and_saveexec_b64 s[34:35], vcc
	s_cbranch_execz .LBB43_3
; %bb.27:                               ;   in Loop: Header=BB43_6 Depth=1
	global_load_dwordx2 v[32:33], v[26:27], off
	s_branch .LBB43_3
.LBB43_28:
	s_lshl_b64 s[0:1], s[40:41], 3
	s_waitcnt lgkmcnt(0)
	s_add_u32 s2, s12, s0
	s_addc_u32 s3, s13, s1
	v_mul_lo_u32 v20, v15, s10
	v_mul_lo_u32 v22, v14, s11
	v_mad_u64_u32 v[14:15], s[0:1], v14, s10, 0
	v_add3_u32 v15, v15, v22, v20
	v_mul_lo_u32 v20, v13, s42
	v_mul_lo_u32 v22, v12, s43
	v_mad_u64_u32 v[12:13], s[0:1], v12, s42, 0
	v_lshlrev_b64 v[14:15], 3, v[14:15]
	v_add3_u32 v13, v13, v22, v20
	v_mov_b32_e32 v20, s3
	v_add_co_u32_e32 v14, vcc, s2, v14
	v_addc_co_u32_e32 v15, vcc, v20, v15, vcc
	v_lshlrev_b64 v[12:13], 3, v[12:13]
	v_add_co_u32_e32 v20, vcc, v14, v12
	v_lshl_or_b32 v12, v21, 4, v18
	v_addc_co_u32_e32 v15, vcc, v15, v13, vcc
	v_mbcnt_hi_u32_b32 v13, -1, v34
	v_and_b32_e32 v12, 63, v12
	v_and_or_b32 v12, v13, 64, v12
	v_lshlrev_b32_e32 v14, 2, v12
	v_mad_u64_u32 v[12:13], s[0:1], v18, s10, 0
	v_cmp_lt_u64_e32 vcc, v[18:19], v[16:17]
	v_mov_b32_e32 v16, v13
	v_mad_u64_u32 v[16:17], s[0:1], v18, s11, v[16:17]
	v_mov_b32_e32 v13, v16
	v_lshlrev_b64 v[12:13], 3, v[12:13]
	ds_bpermute_b32 v0, v14, v0
	ds_bpermute_b32 v1, v14, v1
	v_add_co_u32_e64 v12, s[0:1], v20, v12
	v_addc_co_u32_e64 v13, s[0:1], v15, v13, s[0:1]
	v_cmp_lt_u64_e64 s[0:1], v[10:11], v[8:9]
	s_and_b64 s[0:1], vcc, s[0:1]
	s_and_saveexec_b64 s[2:3], s[0:1]
	s_cbranch_execz .LBB43_30
; %bb.29:
	v_mad_u64_u32 v[16:17], s[0:1], v10, s42, 0
	v_mov_b32_e32 v18, v17
	v_mad_u64_u32 v[18:19], s[0:1], v10, s43, v[18:19]
	v_mov_b32_e32 v17, v18
	v_lshlrev_b64 v[16:17], 3, v[16:17]
	v_add_co_u32_e64 v16, s[0:1], v12, v16
	v_addc_co_u32_e64 v17, s[0:1], v13, v17, s[0:1]
	global_load_dwordx2 v[18:19], v[16:17], off
	s_waitcnt vmcnt(0)
	v_mul_f64 v[18:19], v[18:19], s[36:37]
	s_waitcnt lgkmcnt(0)
	v_fmac_f64_e32 v[18:19], s[18:19], v[0:1]
	global_store_dwordx2 v[16:17], v[18:19], off
.LBB43_30:
	s_or_b64 exec, exec, s[2:3]
	s_waitcnt lgkmcnt(1)
	ds_bpermute_b32 v0, v14, v2
	s_waitcnt lgkmcnt(1)
	ds_bpermute_b32 v1, v14, v3
	v_or_b32_e32 v2, 4, v10
	v_mov_b32_e32 v3, v11
	v_cmp_lt_u64_e64 s[0:1], v[2:3], v[8:9]
	s_and_b64 s[0:1], vcc, s[0:1]
	s_and_saveexec_b64 s[2:3], s[0:1]
	s_cbranch_execz .LBB43_32
; %bb.31:
	v_mad_u64_u32 v[16:17], s[0:1], v2, s42, 0
	v_mov_b32_e32 v18, v17
	v_mad_u64_u32 v[2:3], s[0:1], v2, s43, v[18:19]
	v_mov_b32_e32 v17, v2
	v_lshlrev_b64 v[2:3], 3, v[16:17]
	v_add_co_u32_e64 v2, s[0:1], v12, v2
	v_addc_co_u32_e64 v3, s[0:1], v13, v3, s[0:1]
	global_load_dwordx2 v[16:17], v[2:3], off
	s_waitcnt vmcnt(0)
	v_mul_f64 v[16:17], v[16:17], s[36:37]
	s_waitcnt lgkmcnt(0)
	v_fmac_f64_e32 v[16:17], s[18:19], v[0:1]
	global_store_dwordx2 v[2:3], v[16:17], off
.LBB43_32:
	s_or_b64 exec, exec, s[2:3]
	s_waitcnt lgkmcnt(1)
	ds_bpermute_b32 v0, v14, v4
	s_waitcnt lgkmcnt(1)
	ds_bpermute_b32 v1, v14, v5
	v_or_b32_e32 v2, 8, v10
	v_mov_b32_e32 v3, v11
	v_cmp_lt_u64_e64 s[0:1], v[2:3], v[8:9]
	s_and_b64 s[0:1], vcc, s[0:1]
	s_and_saveexec_b64 s[2:3], s[0:1]
	s_cbranch_execz .LBB43_34
; %bb.33:
	v_mad_u64_u32 v[4:5], s[0:1], v2, s42, 0
	v_mov_b32_e32 v16, v5
	v_mad_u64_u32 v[2:3], s[0:1], v2, s43, v[16:17]
	v_mov_b32_e32 v5, v2
	v_lshlrev_b64 v[2:3], 3, v[4:5]
	v_add_co_u32_e64 v2, s[0:1], v12, v2
	v_addc_co_u32_e64 v3, s[0:1], v13, v3, s[0:1]
	global_load_dwordx2 v[4:5], v[2:3], off
	s_waitcnt vmcnt(0)
	v_mul_f64 v[4:5], v[4:5], s[36:37]
	s_waitcnt lgkmcnt(0)
	v_fmac_f64_e32 v[4:5], s[18:19], v[0:1]
	global_store_dwordx2 v[2:3], v[4:5], off
.LBB43_34:
	s_or_b64 exec, exec, s[2:3]
	s_waitcnt lgkmcnt(1)
	ds_bpermute_b32 v0, v14, v6
	s_waitcnt lgkmcnt(1)
	ds_bpermute_b32 v1, v14, v7
	v_or_b32_e32 v10, 12, v10
	v_cmp_lt_u64_e64 s[0:1], v[10:11], v[8:9]
	s_and_b64 s[0:1], vcc, s[0:1]
	s_and_b64 exec, exec, s[0:1]
	s_cbranch_execz .LBB43_36
; %bb.35:
	v_mad_u64_u32 v[2:3], s[0:1], v10, s42, 0
	v_mov_b32_e32 v4, v3
	v_mad_u64_u32 v[4:5], s[0:1], v10, s43, v[4:5]
	v_mov_b32_e32 v3, v4
	v_lshlrev_b64 v[2:3], 3, v[2:3]
	v_add_co_u32_e32 v2, vcc, v12, v2
	v_addc_co_u32_e32 v3, vcc, v13, v3, vcc
	global_load_dwordx2 v[4:5], v[2:3], off
	s_waitcnt vmcnt(0)
	v_mul_f64 v[4:5], v[4:5], s[36:37]
	s_waitcnt lgkmcnt(0)
	v_fmac_f64_e32 v[4:5], s[18:19], v[0:1]
	global_store_dwordx2 v[2:3], v[4:5], off
.LBB43_36:
	s_endpgm
	.section	.rodata,"a",@progbits
	.p2align	6, 0x0
	.amdhsa_kernel _ZN9rocsolver6v33100L16mfma_gemm_kernelIdldPdPKS2_S4_EEv18rocblas_operation_S5_T0_S6_S6_T1_T2_lS6_S6_lT3_lS6_S6_lS7_T4_lS6_S6_l
		.amdhsa_group_segment_fixed_size 0
		.amdhsa_private_segment_fixed_size 0
		.amdhsa_kernarg_size 424
		.amdhsa_user_sgpr_count 6
		.amdhsa_user_sgpr_private_segment_buffer 1
		.amdhsa_user_sgpr_dispatch_ptr 0
		.amdhsa_user_sgpr_queue_ptr 0
		.amdhsa_user_sgpr_kernarg_segment_ptr 1
		.amdhsa_user_sgpr_dispatch_id 0
		.amdhsa_user_sgpr_flat_scratch_init 0
		.amdhsa_user_sgpr_kernarg_preload_length 0
		.amdhsa_user_sgpr_kernarg_preload_offset 0
		.amdhsa_user_sgpr_private_segment_size 0
		.amdhsa_uses_dynamic_stack 0
		.amdhsa_system_sgpr_private_segment_wavefront_offset 0
		.amdhsa_system_sgpr_workgroup_id_x 1
		.amdhsa_system_sgpr_workgroup_id_y 1
		.amdhsa_system_sgpr_workgroup_id_z 1
		.amdhsa_system_sgpr_workgroup_info 0
		.amdhsa_system_vgpr_workitem_id 1
		.amdhsa_next_free_vgpr 37
		.amdhsa_next_free_sgpr 52
		.amdhsa_accum_offset 40
		.amdhsa_reserve_vcc 1
		.amdhsa_reserve_flat_scratch 0
		.amdhsa_float_round_mode_32 0
		.amdhsa_float_round_mode_16_64 0
		.amdhsa_float_denorm_mode_32 3
		.amdhsa_float_denorm_mode_16_64 3
		.amdhsa_dx10_clamp 1
		.amdhsa_ieee_mode 1
		.amdhsa_fp16_overflow 0
		.amdhsa_tg_split 0
		.amdhsa_exception_fp_ieee_invalid_op 0
		.amdhsa_exception_fp_denorm_src 0
		.amdhsa_exception_fp_ieee_div_zero 0
		.amdhsa_exception_fp_ieee_overflow 0
		.amdhsa_exception_fp_ieee_underflow 0
		.amdhsa_exception_fp_ieee_inexact 0
		.amdhsa_exception_int_div_zero 0
	.end_amdhsa_kernel
	.section	.text._ZN9rocsolver6v33100L16mfma_gemm_kernelIdldPdPKS2_S4_EEv18rocblas_operation_S5_T0_S6_S6_T1_T2_lS6_S6_lT3_lS6_S6_lS7_T4_lS6_S6_l,"axG",@progbits,_ZN9rocsolver6v33100L16mfma_gemm_kernelIdldPdPKS2_S4_EEv18rocblas_operation_S5_T0_S6_S6_T1_T2_lS6_S6_lT3_lS6_S6_lS7_T4_lS6_S6_l,comdat
.Lfunc_end43:
	.size	_ZN9rocsolver6v33100L16mfma_gemm_kernelIdldPdPKS2_S4_EEv18rocblas_operation_S5_T0_S6_S6_T1_T2_lS6_S6_lT3_lS6_S6_lS7_T4_lS6_S6_l, .Lfunc_end43-_ZN9rocsolver6v33100L16mfma_gemm_kernelIdldPdPKS2_S4_EEv18rocblas_operation_S5_T0_S6_S6_T1_T2_lS6_S6_lT3_lS6_S6_lS7_T4_lS6_S6_l
                                        ; -- End function
	.section	.AMDGPU.csdata,"",@progbits
; Kernel info:
; codeLenInByte = 2188
; NumSgprs: 56
; NumVgprs: 37
; NumAgprs: 0
; TotalNumVgprs: 37
; ScratchSize: 0
; MemoryBound: 0
; FloatMode: 240
; IeeeMode: 1
; LDSByteSize: 0 bytes/workgroup (compile time only)
; SGPRBlocks: 6
; VGPRBlocks: 4
; NumSGPRsForWavesPerEU: 56
; NumVGPRsForWavesPerEU: 37
; AccumOffset: 40
; Occupancy: 8
; WaveLimiterHint : 1
; COMPUTE_PGM_RSRC2:SCRATCH_EN: 0
; COMPUTE_PGM_RSRC2:USER_SGPR: 6
; COMPUTE_PGM_RSRC2:TRAP_HANDLER: 0
; COMPUTE_PGM_RSRC2:TGID_X_EN: 1
; COMPUTE_PGM_RSRC2:TGID_Y_EN: 1
; COMPUTE_PGM_RSRC2:TGID_Z_EN: 1
; COMPUTE_PGM_RSRC2:TIDIG_COMP_CNT: 1
; COMPUTE_PGM_RSRC3_GFX90A:ACCUM_OFFSET: 9
; COMPUTE_PGM_RSRC3_GFX90A:TG_SPLIT: 0
	.section	.text._ZN9rocsolver6v33100L11gemm_kernelIdlPKdPdPKS4_S6_EEvT0_S7_S7_T1_bT2_lS7_S7_lbT3_lS7_S7_lS8_T4_lS7_S7_l,"axG",@progbits,_ZN9rocsolver6v33100L11gemm_kernelIdlPKdPdPKS4_S6_EEvT0_S7_S7_T1_bT2_lS7_S7_lbT3_lS7_S7_lS8_T4_lS7_S7_l,comdat
	.globl	_ZN9rocsolver6v33100L11gemm_kernelIdlPKdPdPKS4_S6_EEvT0_S7_S7_T1_bT2_lS7_S7_lbT3_lS7_S7_lS8_T4_lS7_S7_l ; -- Begin function _ZN9rocsolver6v33100L11gemm_kernelIdlPKdPdPKS4_S6_EEvT0_S7_S7_T1_bT2_lS7_S7_lbT3_lS7_S7_lS8_T4_lS7_S7_l
	.p2align	8
	.type	_ZN9rocsolver6v33100L11gemm_kernelIdlPKdPdPKS4_S6_EEvT0_S7_S7_T1_bT2_lS7_S7_lbT3_lS7_S7_lS8_T4_lS7_S7_l,@function
_ZN9rocsolver6v33100L11gemm_kernelIdlPKdPdPKS4_S6_EEvT0_S7_S7_T1_bT2_lS7_S7_lbT3_lS7_S7_lS8_T4_lS7_S7_l: ; @_ZN9rocsolver6v33100L11gemm_kernelIdlPKdPdPKS4_S6_EEvT0_S7_S7_T1_bT2_lS7_S7_lbT3_lS7_S7_lS8_T4_lS7_S7_l
; %bb.0:
	s_load_dword s0, s[4:5], 0xbc
	s_load_dwordx8 s[12:19], s[4:5], 0x0
	v_and_b32_e32 v4, 0x3ff, v0
	v_mov_b32_e32 v5, 0
	v_mov_b32_e32 v1, s6
	s_waitcnt lgkmcnt(0)
	s_lshr_b32 s2, s0, 16
	s_and_b32 s0, s0, 0xffff
	v_mad_u64_u32 v[2:3], s[0:1], s0, v1, v[4:5]
	v_bfe_u32 v4, v0, 10, 10
	v_mov_b32_e32 v0, s7
	v_mad_u64_u32 v[0:1], s[0:1], s2, v0, v[4:5]
	v_cmp_gt_i64_e32 vcc, s[12:13], v[2:3]
	v_cmp_gt_i64_e64 s[0:1], s[14:15], v[0:1]
	s_mov_b32 s9, 0
	s_and_b64 s[0:1], vcc, s[0:1]
	s_and_saveexec_b64 s[2:3], s[0:1]
	s_cbranch_execz .LBB44_6
; %bb.1:
	s_load_dwordx8 s[20:27], s[4:5], 0x80
	s_load_dwordx2 s[0:1], s[4:5], 0xa0
	s_lshl_b64 s[6:7], s[8:9], 3
	v_cmp_lt_i64_e64 s[10:11], s[16:17], 1
	s_waitcnt lgkmcnt(0)
	s_add_u32 s2, s22, s6
	s_addc_u32 s3, s23, s7
	s_load_dwordx2 s[2:3], s[2:3], 0x0
	s_and_b64 vcc, exec, s[10:11]
	s_cbranch_vccnz .LBB44_4
; %bb.2:
	s_load_dwordx8 s[36:43], s[4:5], 0x58
	s_load_dwordx2 s[10:11], s[4:5], 0x48
	s_load_dwordx8 s[44:51], s[4:5], 0x28
	s_waitcnt lgkmcnt(0)
	s_add_u32 s4, s36, s6
	s_mul_i32 s6, s8, s11
	s_mul_hi_u32 s9, s8, s10
	s_addc_u32 s5, s37, s7
	s_add_i32 s7, s9, s6
	s_mul_i32 s6, s8, s10
	s_load_dwordx2 s[4:5], s[4:5], 0x0
	s_lshl_b64 s[6:7], s[6:7], 3
	s_add_u32 s8, s44, s6
	s_addc_u32 s9, s45, s7
	s_lshl_b64 s[6:7], s[46:47], 3
	s_add_u32 s8, s8, s6
	s_addc_u32 s9, s9, s7
	s_lshl_b64 s[6:7], s[38:39], 3
	s_waitcnt lgkmcnt(0)
	s_add_u32 s6, s4, s6
	s_addc_u32 s7, s5, s7
	v_mul_lo_u32 v6, v3, s48
	v_mul_lo_u32 v7, v2, s49
	v_mad_u64_u32 v[4:5], s[4:5], v2, s48, 0
	v_add3_u32 v5, v5, v7, v6
	v_lshlrev_b64 v[4:5], 3, v[4:5]
	v_mov_b32_e32 v7, s9
	v_add_co_u32_e32 v6, vcc, s8, v4
	v_addc_co_u32_e32 v7, vcc, v7, v5, vcc
	v_mul_lo_u32 v8, v1, s42
	v_mul_lo_u32 v9, v0, s43
	v_mad_u64_u32 v[4:5], s[4:5], v0, s42, 0
	v_add3_u32 v5, v5, v9, v8
	v_lshlrev_b64 v[4:5], 3, v[4:5]
	v_mov_b32_e32 v9, s7
	v_add_co_u32_e32 v8, vcc, s6, v4
	s_lshl_b64 s[4:5], s[40:41], 3
	s_lshl_b64 s[6:7], s[50:51], 3
	v_addc_co_u32_e32 v9, vcc, v9, v5, vcc
	v_pk_mov_b32 v[4:5], 0, 0
	v_mov_b32_e32 v10, s5
	v_mov_b32_e32 v11, s7
.LBB44_3:                               ; =>This Inner Loop Header: Depth=1
	global_load_dwordx2 v[12:13], v[6:7], off
	global_load_dwordx2 v[14:15], v[8:9], off
	v_add_co_u32_e32 v8, vcc, s4, v8
	v_addc_co_u32_e32 v9, vcc, v9, v10, vcc
	s_add_u32 s16, s16, -1
	v_add_co_u32_e32 v6, vcc, s6, v6
	s_addc_u32 s17, s17, -1
	v_addc_co_u32_e32 v7, vcc, v7, v11, vcc
	s_cmp_eq_u64 s[16:17], 0
	s_waitcnt vmcnt(0)
	v_fmac_f64_e32 v[4:5], v[12:13], v[14:15]
	s_cbranch_scc0 .LBB44_3
	s_branch .LBB44_5
.LBB44_4:
	v_pk_mov_b32 v[4:5], 0, 0
.LBB44_5:
	s_lshl_b64 s[8:9], s[24:25], 3
	s_waitcnt lgkmcnt(0)
	s_add_u32 s8, s2, s8
	s_addc_u32 s9, s3, s9
	v_mul_lo_u32 v6, v3, s26
	v_mul_lo_u32 v7, v2, s27
	v_mad_u64_u32 v[2:3], s[2:3], v2, s26, 0
	v_add3_u32 v3, v3, v7, v6
	v_mul_lo_u32 v6, v1, s0
	v_mul_lo_u32 v7, v0, s1
	v_mad_u64_u32 v[0:1], s[0:1], v0, s0, 0
	v_lshlrev_b64 v[2:3], 3, v[2:3]
	v_add3_u32 v1, v1, v7, v6
	v_mov_b32_e32 v6, s9
	v_add_co_u32_e32 v2, vcc, s8, v2
	v_addc_co_u32_e32 v3, vcc, v6, v3, vcc
	v_lshlrev_b64 v[0:1], 3, v[0:1]
	v_add_co_u32_e32 v0, vcc, v2, v0
	v_addc_co_u32_e32 v1, vcc, v3, v1, vcc
	s_load_dwordx2 s[4:5], s[18:19], 0x0
	s_load_dwordx2 s[6:7], s[20:21], 0x0
	global_load_dwordx2 v[2:3], v[0:1], off
	s_waitcnt vmcnt(0) lgkmcnt(0)
	v_mul_f64 v[2:3], s[6:7], v[2:3]
	v_fmac_f64_e32 v[2:3], s[4:5], v[4:5]
	global_store_dwordx2 v[0:1], v[2:3], off
.LBB44_6:
	s_endpgm
	.section	.rodata,"a",@progbits
	.p2align	6, 0x0
	.amdhsa_kernel _ZN9rocsolver6v33100L11gemm_kernelIdlPKdPdPKS4_S6_EEvT0_S7_S7_T1_bT2_lS7_S7_lbT3_lS7_S7_lS8_T4_lS7_S7_l
		.amdhsa_group_segment_fixed_size 0
		.amdhsa_private_segment_fixed_size 0
		.amdhsa_kernarg_size 432
		.amdhsa_user_sgpr_count 6
		.amdhsa_user_sgpr_private_segment_buffer 1
		.amdhsa_user_sgpr_dispatch_ptr 0
		.amdhsa_user_sgpr_queue_ptr 0
		.amdhsa_user_sgpr_kernarg_segment_ptr 1
		.amdhsa_user_sgpr_dispatch_id 0
		.amdhsa_user_sgpr_flat_scratch_init 0
		.amdhsa_user_sgpr_kernarg_preload_length 0
		.amdhsa_user_sgpr_kernarg_preload_offset 0
		.amdhsa_user_sgpr_private_segment_size 0
		.amdhsa_uses_dynamic_stack 0
		.amdhsa_system_sgpr_private_segment_wavefront_offset 0
		.amdhsa_system_sgpr_workgroup_id_x 1
		.amdhsa_system_sgpr_workgroup_id_y 1
		.amdhsa_system_sgpr_workgroup_id_z 1
		.amdhsa_system_sgpr_workgroup_info 0
		.amdhsa_system_vgpr_workitem_id 1
		.amdhsa_next_free_vgpr 16
		.amdhsa_next_free_sgpr 52
		.amdhsa_accum_offset 16
		.amdhsa_reserve_vcc 1
		.amdhsa_reserve_flat_scratch 0
		.amdhsa_float_round_mode_32 0
		.amdhsa_float_round_mode_16_64 0
		.amdhsa_float_denorm_mode_32 3
		.amdhsa_float_denorm_mode_16_64 3
		.amdhsa_dx10_clamp 1
		.amdhsa_ieee_mode 1
		.amdhsa_fp16_overflow 0
		.amdhsa_tg_split 0
		.amdhsa_exception_fp_ieee_invalid_op 0
		.amdhsa_exception_fp_denorm_src 0
		.amdhsa_exception_fp_ieee_div_zero 0
		.amdhsa_exception_fp_ieee_overflow 0
		.amdhsa_exception_fp_ieee_underflow 0
		.amdhsa_exception_fp_ieee_inexact 0
		.amdhsa_exception_int_div_zero 0
	.end_amdhsa_kernel
	.section	.text._ZN9rocsolver6v33100L11gemm_kernelIdlPKdPdPKS4_S6_EEvT0_S7_S7_T1_bT2_lS7_S7_lbT3_lS7_S7_lS8_T4_lS7_S7_l,"axG",@progbits,_ZN9rocsolver6v33100L11gemm_kernelIdlPKdPdPKS4_S6_EEvT0_S7_S7_T1_bT2_lS7_S7_lbT3_lS7_S7_lS8_T4_lS7_S7_l,comdat
.Lfunc_end44:
	.size	_ZN9rocsolver6v33100L11gemm_kernelIdlPKdPdPKS4_S6_EEvT0_S7_S7_T1_bT2_lS7_S7_lbT3_lS7_S7_lS8_T4_lS7_S7_l, .Lfunc_end44-_ZN9rocsolver6v33100L11gemm_kernelIdlPKdPdPKS4_S6_EEvT0_S7_S7_T1_bT2_lS7_S7_lbT3_lS7_S7_lS8_T4_lS7_S7_l
                                        ; -- End function
	.section	.AMDGPU.csdata,"",@progbits
; Kernel info:
; codeLenInByte = 624
; NumSgprs: 56
; NumVgprs: 16
; NumAgprs: 0
; TotalNumVgprs: 16
; ScratchSize: 0
; MemoryBound: 0
; FloatMode: 240
; IeeeMode: 1
; LDSByteSize: 0 bytes/workgroup (compile time only)
; SGPRBlocks: 6
; VGPRBlocks: 1
; NumSGPRsForWavesPerEU: 56
; NumVGPRsForWavesPerEU: 16
; AccumOffset: 16
; Occupancy: 8
; WaveLimiterHint : 1
; COMPUTE_PGM_RSRC2:SCRATCH_EN: 0
; COMPUTE_PGM_RSRC2:USER_SGPR: 6
; COMPUTE_PGM_RSRC2:TRAP_HANDLER: 0
; COMPUTE_PGM_RSRC2:TGID_X_EN: 1
; COMPUTE_PGM_RSRC2:TGID_Y_EN: 1
; COMPUTE_PGM_RSRC2:TGID_Z_EN: 1
; COMPUTE_PGM_RSRC2:TIDIG_COMP_CNT: 1
; COMPUTE_PGM_RSRC3_GFX90A:ACCUM_OFFSET: 3
; COMPUTE_PGM_RSRC3_GFX90A:TG_SPLIT: 0
	.section	.text._ZN9rocsolver6v33100L11gemm_kernelIdldPdPKS2_S4_EEvT0_S5_S5_T1_bT2_lS5_S5_lbT3_lS5_S5_lS6_T4_lS5_S5_l,"axG",@progbits,_ZN9rocsolver6v33100L11gemm_kernelIdldPdPKS2_S4_EEvT0_S5_S5_T1_bT2_lS5_S5_lbT3_lS5_S5_lS6_T4_lS5_S5_l,comdat
	.globl	_ZN9rocsolver6v33100L11gemm_kernelIdldPdPKS2_S4_EEvT0_S5_S5_T1_bT2_lS5_S5_lbT3_lS5_S5_lS6_T4_lS5_S5_l ; -- Begin function _ZN9rocsolver6v33100L11gemm_kernelIdldPdPKS2_S4_EEvT0_S5_S5_T1_bT2_lS5_S5_lbT3_lS5_S5_lS6_T4_lS5_S5_l
	.p2align	8
	.type	_ZN9rocsolver6v33100L11gemm_kernelIdldPdPKS2_S4_EEvT0_S5_S5_T1_bT2_lS5_S5_lbT3_lS5_S5_lS6_T4_lS5_S5_l,@function
_ZN9rocsolver6v33100L11gemm_kernelIdldPdPKS2_S4_EEvT0_S5_S5_T1_bT2_lS5_S5_lbT3_lS5_S5_lS6_T4_lS5_S5_l: ; @_ZN9rocsolver6v33100L11gemm_kernelIdldPdPKS2_S4_EEvT0_S5_S5_T1_bT2_lS5_S5_lbT3_lS5_S5_lS6_T4_lS5_S5_l
; %bb.0:
	s_load_dword s0, s[4:5], 0xbc
	s_load_dwordx8 s[12:19], s[4:5], 0x0
	v_and_b32_e32 v4, 0x3ff, v0
	v_mov_b32_e32 v5, 0
	v_mov_b32_e32 v1, s6
	s_waitcnt lgkmcnt(0)
	s_lshr_b32 s2, s0, 16
	s_and_b32 s0, s0, 0xffff
	v_mad_u64_u32 v[2:3], s[0:1], s0, v1, v[4:5]
	v_bfe_u32 v4, v0, 10, 10
	v_mov_b32_e32 v0, s7
	v_mad_u64_u32 v[0:1], s[0:1], s2, v0, v[4:5]
	v_cmp_gt_i64_e32 vcc, s[12:13], v[2:3]
	v_cmp_gt_i64_e64 s[0:1], s[14:15], v[0:1]
	s_mov_b32 s9, 0
	s_and_b64 s[0:1], vcc, s[0:1]
	s_and_saveexec_b64 s[2:3], s[0:1]
	s_cbranch_execz .LBB45_6
; %bb.1:
	s_load_dwordx8 s[20:27], s[4:5], 0x80
	s_load_dwordx2 s[0:1], s[4:5], 0xa0
	s_lshl_b64 s[6:7], s[8:9], 3
	v_cmp_lt_i64_e64 s[10:11], s[16:17], 1
	s_waitcnt lgkmcnt(0)
	s_add_u32 s2, s22, s6
	s_addc_u32 s3, s23, s7
	s_load_dwordx2 s[2:3], s[2:3], 0x0
	s_and_b64 vcc, exec, s[10:11]
	s_cbranch_vccnz .LBB45_4
; %bb.2:
	s_load_dwordx8 s[36:43], s[4:5], 0x58
	s_load_dwordx2 s[10:11], s[4:5], 0x48
	s_load_dwordx8 s[44:51], s[4:5], 0x28
	s_waitcnt lgkmcnt(0)
	s_add_u32 s4, s36, s6
	s_mul_i32 s6, s8, s11
	s_mul_hi_u32 s9, s8, s10
	s_addc_u32 s5, s37, s7
	s_add_i32 s7, s9, s6
	s_mul_i32 s6, s8, s10
	s_load_dwordx2 s[4:5], s[4:5], 0x0
	s_lshl_b64 s[6:7], s[6:7], 3
	s_add_u32 s8, s44, s6
	s_addc_u32 s9, s45, s7
	s_lshl_b64 s[6:7], s[46:47], 3
	s_add_u32 s8, s8, s6
	s_addc_u32 s9, s9, s7
	s_lshl_b64 s[6:7], s[38:39], 3
	s_waitcnt lgkmcnt(0)
	s_add_u32 s6, s4, s6
	s_addc_u32 s7, s5, s7
	v_mul_lo_u32 v6, v3, s48
	v_mul_lo_u32 v7, v2, s49
	v_mad_u64_u32 v[4:5], s[4:5], v2, s48, 0
	v_add3_u32 v5, v5, v7, v6
	v_lshlrev_b64 v[4:5], 3, v[4:5]
	v_mov_b32_e32 v7, s9
	v_add_co_u32_e32 v6, vcc, s8, v4
	v_addc_co_u32_e32 v7, vcc, v7, v5, vcc
	v_mul_lo_u32 v8, v1, s42
	v_mul_lo_u32 v9, v0, s43
	v_mad_u64_u32 v[4:5], s[4:5], v0, s42, 0
	v_add3_u32 v5, v5, v9, v8
	v_lshlrev_b64 v[4:5], 3, v[4:5]
	v_mov_b32_e32 v9, s7
	v_add_co_u32_e32 v8, vcc, s6, v4
	s_lshl_b64 s[4:5], s[40:41], 3
	s_lshl_b64 s[6:7], s[50:51], 3
	v_addc_co_u32_e32 v9, vcc, v9, v5, vcc
	v_pk_mov_b32 v[4:5], 0, 0
	v_mov_b32_e32 v10, s5
	v_mov_b32_e32 v11, s7
.LBB45_3:                               ; =>This Inner Loop Header: Depth=1
	global_load_dwordx2 v[12:13], v[6:7], off
	global_load_dwordx2 v[14:15], v[8:9], off
	v_add_co_u32_e32 v8, vcc, s4, v8
	v_addc_co_u32_e32 v9, vcc, v9, v10, vcc
	s_add_u32 s16, s16, -1
	v_add_co_u32_e32 v6, vcc, s6, v6
	s_addc_u32 s17, s17, -1
	v_addc_co_u32_e32 v7, vcc, v7, v11, vcc
	s_cmp_eq_u64 s[16:17], 0
	s_waitcnt vmcnt(0)
	v_fmac_f64_e32 v[4:5], v[12:13], v[14:15]
	s_cbranch_scc0 .LBB45_3
	s_branch .LBB45_5
.LBB45_4:
	v_pk_mov_b32 v[4:5], 0, 0
.LBB45_5:
	s_lshl_b64 s[4:5], s[24:25], 3
	s_waitcnt lgkmcnt(0)
	s_add_u32 s4, s2, s4
	s_addc_u32 s5, s3, s5
	v_mul_lo_u32 v6, v3, s26
	v_mul_lo_u32 v7, v2, s27
	v_mad_u64_u32 v[2:3], s[2:3], v2, s26, 0
	v_add3_u32 v3, v3, v7, v6
	v_mul_lo_u32 v6, v1, s0
	v_mul_lo_u32 v7, v0, s1
	v_mad_u64_u32 v[0:1], s[0:1], v0, s0, 0
	v_lshlrev_b64 v[2:3], 3, v[2:3]
	v_add3_u32 v1, v1, v7, v6
	v_mov_b32_e32 v6, s5
	v_add_co_u32_e32 v2, vcc, s4, v2
	v_addc_co_u32_e32 v3, vcc, v6, v3, vcc
	v_lshlrev_b64 v[0:1], 3, v[0:1]
	v_add_co_u32_e32 v0, vcc, v2, v0
	v_addc_co_u32_e32 v1, vcc, v3, v1, vcc
	global_load_dwordx2 v[2:3], v[0:1], off
	s_waitcnt vmcnt(0)
	v_mul_f64 v[2:3], v[2:3], s[20:21]
	v_fmac_f64_e32 v[2:3], s[18:19], v[4:5]
	global_store_dwordx2 v[0:1], v[2:3], off
.LBB45_6:
	s_endpgm
	.section	.rodata,"a",@progbits
	.p2align	6, 0x0
	.amdhsa_kernel _ZN9rocsolver6v33100L11gemm_kernelIdldPdPKS2_S4_EEvT0_S5_S5_T1_bT2_lS5_S5_lbT3_lS5_S5_lS6_T4_lS5_S5_l
		.amdhsa_group_segment_fixed_size 0
		.amdhsa_private_segment_fixed_size 0
		.amdhsa_kernarg_size 432
		.amdhsa_user_sgpr_count 6
		.amdhsa_user_sgpr_private_segment_buffer 1
		.amdhsa_user_sgpr_dispatch_ptr 0
		.amdhsa_user_sgpr_queue_ptr 0
		.amdhsa_user_sgpr_kernarg_segment_ptr 1
		.amdhsa_user_sgpr_dispatch_id 0
		.amdhsa_user_sgpr_flat_scratch_init 0
		.amdhsa_user_sgpr_kernarg_preload_length 0
		.amdhsa_user_sgpr_kernarg_preload_offset 0
		.amdhsa_user_sgpr_private_segment_size 0
		.amdhsa_uses_dynamic_stack 0
		.amdhsa_system_sgpr_private_segment_wavefront_offset 0
		.amdhsa_system_sgpr_workgroup_id_x 1
		.amdhsa_system_sgpr_workgroup_id_y 1
		.amdhsa_system_sgpr_workgroup_id_z 1
		.amdhsa_system_sgpr_workgroup_info 0
		.amdhsa_system_vgpr_workitem_id 1
		.amdhsa_next_free_vgpr 16
		.amdhsa_next_free_sgpr 52
		.amdhsa_accum_offset 16
		.amdhsa_reserve_vcc 1
		.amdhsa_reserve_flat_scratch 0
		.amdhsa_float_round_mode_32 0
		.amdhsa_float_round_mode_16_64 0
		.amdhsa_float_denorm_mode_32 3
		.amdhsa_float_denorm_mode_16_64 3
		.amdhsa_dx10_clamp 1
		.amdhsa_ieee_mode 1
		.amdhsa_fp16_overflow 0
		.amdhsa_tg_split 0
		.amdhsa_exception_fp_ieee_invalid_op 0
		.amdhsa_exception_fp_denorm_src 0
		.amdhsa_exception_fp_ieee_div_zero 0
		.amdhsa_exception_fp_ieee_overflow 0
		.amdhsa_exception_fp_ieee_underflow 0
		.amdhsa_exception_fp_ieee_inexact 0
		.amdhsa_exception_int_div_zero 0
	.end_amdhsa_kernel
	.section	.text._ZN9rocsolver6v33100L11gemm_kernelIdldPdPKS2_S4_EEvT0_S5_S5_T1_bT2_lS5_S5_lbT3_lS5_S5_lS6_T4_lS5_S5_l,"axG",@progbits,_ZN9rocsolver6v33100L11gemm_kernelIdldPdPKS2_S4_EEvT0_S5_S5_T1_bT2_lS5_S5_lbT3_lS5_S5_lS6_T4_lS5_S5_l,comdat
.Lfunc_end45:
	.size	_ZN9rocsolver6v33100L11gemm_kernelIdldPdPKS2_S4_EEvT0_S5_S5_T1_bT2_lS5_S5_lbT3_lS5_S5_lS6_T4_lS5_S5_l, .Lfunc_end45-_ZN9rocsolver6v33100L11gemm_kernelIdldPdPKS2_S4_EEvT0_S5_S5_T1_bT2_lS5_S5_lbT3_lS5_S5_lS6_T4_lS5_S5_l
                                        ; -- End function
	.section	.AMDGPU.csdata,"",@progbits
; Kernel info:
; codeLenInByte = 608
; NumSgprs: 56
; NumVgprs: 16
; NumAgprs: 0
; TotalNumVgprs: 16
; ScratchSize: 0
; MemoryBound: 0
; FloatMode: 240
; IeeeMode: 1
; LDSByteSize: 0 bytes/workgroup (compile time only)
; SGPRBlocks: 6
; VGPRBlocks: 1
; NumSGPRsForWavesPerEU: 56
; NumVGPRsForWavesPerEU: 16
; AccumOffset: 16
; Occupancy: 8
; WaveLimiterHint : 1
; COMPUTE_PGM_RSRC2:SCRATCH_EN: 0
; COMPUTE_PGM_RSRC2:USER_SGPR: 6
; COMPUTE_PGM_RSRC2:TRAP_HANDLER: 0
; COMPUTE_PGM_RSRC2:TGID_X_EN: 1
; COMPUTE_PGM_RSRC2:TGID_Y_EN: 1
; COMPUTE_PGM_RSRC2:TGID_Z_EN: 1
; COMPUTE_PGM_RSRC2:TIDIG_COMP_CNT: 1
; COMPUTE_PGM_RSRC3_GFX90A:ACCUM_OFFSET: 3
; COMPUTE_PGM_RSRC3_GFX90A:TG_SPLIT: 0
	.section	.text._ZN9rocsolver6v33100L16mfma_gemm_kernelIdlPKdPKPdS4_S6_EEv18rocblas_operation_S7_T0_S8_S8_T1_T2_lS8_S8_lT3_lS8_S8_lS9_T4_lS8_S8_l,"axG",@progbits,_ZN9rocsolver6v33100L16mfma_gemm_kernelIdlPKdPKPdS4_S6_EEv18rocblas_operation_S7_T0_S8_S8_T1_T2_lS8_S8_lT3_lS8_S8_lS9_T4_lS8_S8_l,comdat
	.globl	_ZN9rocsolver6v33100L16mfma_gemm_kernelIdlPKdPKPdS4_S6_EEv18rocblas_operation_S7_T0_S8_S8_T1_T2_lS8_S8_lT3_lS8_S8_lS9_T4_lS8_S8_l ; -- Begin function _ZN9rocsolver6v33100L16mfma_gemm_kernelIdlPKdPKPdS4_S6_EEv18rocblas_operation_S7_T0_S8_S8_T1_T2_lS8_S8_lT3_lS8_S8_lS9_T4_lS8_S8_l
	.p2align	8
	.type	_ZN9rocsolver6v33100L16mfma_gemm_kernelIdlPKdPKPdS4_S6_EEv18rocblas_operation_S7_T0_S8_S8_T1_T2_lS8_S8_lT3_lS8_S8_lS9_T4_lS8_S8_l,@function
_ZN9rocsolver6v33100L16mfma_gemm_kernelIdlPKdPKPdS4_S6_EEv18rocblas_operation_S7_T0_S8_S8_T1_T2_lS8_S8_lT3_lS8_S8_lS9_T4_lS8_S8_l: ; @_ZN9rocsolver6v33100L16mfma_gemm_kernelIdlPKdPKPdS4_S6_EEv18rocblas_operation_S7_T0_S8_S8_T1_T2_lS8_S8_lT3_lS8_S8_lS9_T4_lS8_S8_l
; %bb.0:
	s_load_dword s0, s[4:5], 0xb4
	s_load_dwordx16 s[36:51], s[4:5], 0x8
	v_and_b32_e32 v1, 0x3ff, v0
	v_lshrrev_b32_e32 v8, 6, v1
	v_mov_b32_e32 v9, 0
	s_waitcnt lgkmcnt(0)
	s_lshr_b32 s2, s0, 16
	s_bfe_u32 s0, s0, 0xa0006
	v_bfe_u32 v2, v0, 10, 10
	v_mov_b32_e32 v0, s6
	v_mov_b32_e32 v3, v9
	v_mad_u64_u32 v[22:23], s[0:1], s0, v0, v[8:9]
	v_mov_b32_e32 v0, s7
	v_mad_u64_u32 v[26:27], s[0:1], s2, v0, v[2:3]
	v_lshlrev_b64 v[12:13], 4, v[22:23]
	v_lshlrev_b64 v[14:15], 4, v[26:27]
	v_cmp_gt_i64_e32 vcc, s[36:37], v[12:13]
	v_cmp_gt_i64_e64 s[0:1], s[38:39], v[14:15]
	s_and_b64 s[0:1], vcc, s[0:1]
	s_and_saveexec_b64 s[2:3], s[0:1]
	s_cbranch_execz .LBB46_36
; %bb.1:
	s_load_dwordx16 s[12:27], s[4:5], 0x50
	v_add_co_u32_e32 v2, vcc, 16, v12
	v_addc_co_u32_e32 v3, vcc, 0, v13, vcc
	s_and_b32 s0, s36, 15
	s_mov_b32 s9, 0
	v_mov_b32_e32 v0, s0
	v_cmp_lt_u64_e32 vcc, s[36:37], v[2:3]
	s_and_b32 s0, s38, 15
	s_lshl_b64 s[2:3], s[8:9], 3
	v_cndmask_b32_e32 v8, 16, v0, vcc
	v_mov_b32_e32 v0, s0
	s_waitcnt lgkmcnt(0)
	s_add_u32 s0, s24, s2
	s_addc_u32 s1, s25, s3
	v_add_co_u32_e32 v2, vcc, 16, v14
	s_load_dwordx2 s[28:29], s[42:43], 0x0
	s_load_dwordx2 s[30:31], s[22:23], 0x0
	v_addc_co_u32_e32 v3, vcc, 0, v15, vcc
	s_load_dwordx2 s[22:23], s[0:1], 0x0
	v_cmp_lt_u64_e32 vcc, s[38:39], v[2:3]
	v_cndmask_b32_e32 v16, 16, v0, vcc
	v_mov_b32_e32 v17, v9
	v_bfe_u32 v18, v1, 2, 4
	v_mov_b32_e32 v19, v9
	v_cmp_lt_i64_e64 s[0:1], s[40:41], 1
	v_pk_mov_b32 v[6:7], 0, 0
	v_and_b32_e32 v21, 63, v1
	v_and_b32_e32 v10, 3, v1
	v_mov_b32_e32 v11, v9
	s_and_b64 vcc, exec, s[0:1]
	v_cmp_lt_u64_e64 s[0:1], v[18:19], v[16:17]
	v_mbcnt_lo_u32_b32 v34, -1, 0
	v_pk_mov_b32 v[4:5], v[6:7], v[6:7] op_sel:[0,1]
	v_pk_mov_b32 v[2:3], v[6:7], v[6:7] op_sel:[0,1]
	;; [unrolled: 1-line block ×3, first 2 shown]
	s_cbranch_vccnz .LBB46_28
; %bb.2:
	s_load_dwordx2 s[6:7], s[4:5], 0x0
	v_mov_b32_e32 v1, 0
	v_and_b32_e32 v0, 15, v21
	v_lshrrev_b32_e32 v20, 4, v21
	v_cmp_lt_u64_e64 s[10:11], v[0:1], v[16:17]
	s_waitcnt lgkmcnt(0)
	s_cmpk_lg_i32 s6, 0x6f
	s_cselect_b64 s[24:25], -1, 0
	s_cmpk_lg_i32 s7, 0x6f
	s_cselect_b64 s[34:35], -1, 0
	s_cmpk_eq_i32 s7, 0x6f
	s_cselect_b32 s9, s18, s16
	s_cselect_b32 s33, s19, s17
	s_add_u32 s2, s44, s2
	s_addc_u32 s3, s45, s3
	s_cmpk_eq_i32 s6, 0x6f
	s_cselect_b32 s38, s48, s50
	s_cselect_b32 s39, s49, s51
	v_cmp_lt_u64_e64 s[6:7], v[0:1], v[8:9]
	v_mul_lo_u32 v1, s39, v22
	v_mul_lo_u32 v4, s38, v23
	v_mad_u64_u32 v[2:3], s[38:39], s38, v22, 0
	v_add3_u32 v3, v3, v4, v1
	v_mad_u64_u32 v[4:5], s[38:39], s50, v20, 0
	v_mov_b32_e32 v6, v5
	v_mad_u64_u32 v[6:7], s[38:39], s51, v20, v[6:7]
	v_mov_b32_e32 v5, v6
	v_lshlrev_b64 v[2:3], 7, v[2:3]
	v_lshlrev_b64 v[4:5], 3, v[4:5]
	v_add_co_u32_e32 v1, vcc, v2, v4
	s_load_dwordx2 s[36:37], s[2:3], 0x0
	v_addc_co_u32_e32 v22, vcc, v3, v5, vcc
	v_mad_u64_u32 v[4:5], s[38:39], s48, v0, 0
	v_mov_b32_e32 v6, v5
	v_mad_u64_u32 v[6:7], s[38:39], s49, v0, v[6:7]
	v_mov_b32_e32 v5, v6
	v_lshlrev_b64 v[4:5], 3, v[4:5]
	s_lshl_b64 s[38:39], s[46:47], 3
	v_add_co_u32_e32 v1, vcc, v1, v4
	s_waitcnt lgkmcnt(0)
	s_add_u32 s42, s36, s38
	v_addc_co_u32_e32 v4, vcc, v22, v5, vcc
	s_addc_u32 s43, s37, s39
	v_mov_b32_e32 v5, s43
	v_add_co_u32_e32 v22, vcc, s42, v1
	v_addc_co_u32_e32 v23, vcc, v5, v4, vcc
	v_mad_u64_u32 v[4:5], s[38:39], s50, v18, 0
	v_mov_b32_e32 v6, v5
	v_mad_u64_u32 v[6:7], s[38:39], s51, v18, v[6:7]
	v_mov_b32_e32 v5, v6
	v_lshlrev_b64 v[4:5], 3, v[4:5]
	v_add_co_u32_e32 v1, vcc, v2, v4
	v_addc_co_u32_e32 v6, vcc, v3, v5, vcc
	v_mad_u64_u32 v[2:3], s[38:39], s48, v10, 0
	v_mov_b32_e32 v4, v3
	v_mad_u64_u32 v[4:5], s[38:39], s49, v10, v[4:5]
	v_mov_b32_e32 v3, v4
	v_lshlrev_b64 v[2:3], 3, v[2:3]
	v_add_co_u32_e32 v1, vcc, v1, v2
	v_addc_co_u32_e32 v2, vcc, v6, v3, vcc
	v_mov_b32_e32 v3, s43
	v_add_co_u32_e32 v24, vcc, s42, v1
	v_addc_co_u32_e32 v25, vcc, v3, v2, vcc
	v_mul_lo_u32 v1, s33, v26
	v_mul_lo_u32 v4, s9, v27
	v_mad_u64_u32 v[2:3], s[42:43], s9, v26, 0
	v_add3_u32 v3, v3, v4, v1
	v_mad_u64_u32 v[4:5], s[42:43], s18, v18, 0
	v_mov_b32_e32 v6, v5
	v_mad_u64_u32 v[6:7], s[42:43], s19, v18, v[6:7]
	v_mov_b32_e32 v5, v6
	v_lshlrev_b64 v[2:3], 7, v[2:3]
	v_lshlrev_b64 v[4:5], 3, v[4:5]
	s_mul_i32 s9, s21, s8
	s_mul_hi_u32 s21, s20, s8
	v_add_co_u32_e32 v1, vcc, v2, v4
	s_add_i32 s9, s21, s9
	s_mul_i32 s8, s20, s8
	v_addc_co_u32_e32 v4, vcc, v3, v5, vcc
	s_lshl_b64 s[20:21], s[8:9], 3
	v_mov_b32_e32 v28, s21
	v_add_co_u32_e32 v1, vcc, s20, v1
	v_addc_co_u32_e32 v26, vcc, v4, v28, vcc
	v_mad_u64_u32 v[4:5], s[8:9], s16, v10, 0
	v_mov_b32_e32 v6, v5
	v_mad_u64_u32 v[6:7], s[8:9], s17, v10, v[6:7]
	v_mov_b32_e32 v5, v6
	s_lshl_b64 s[36:37], s[50:51], 5
	s_lshl_b64 s[38:39], s[48:49], 5
	v_lshlrev_b64 v[4:5], 3, v[4:5]
	s_lshl_b64 s[8:9], s[14:15], 3
	v_add_co_u32_e32 v1, vcc, v1, v4
	s_add_u32 s14, s12, s8
	v_addc_co_u32_e32 v4, vcc, v26, v5, vcc
	s_addc_u32 s15, s13, s9
	v_mov_b32_e32 v5, s15
	v_add_co_u32_e32 v26, vcc, s14, v1
	v_addc_co_u32_e32 v27, vcc, v5, v4, vcc
	v_mad_u64_u32 v[4:5], s[12:13], s18, v20, 0
	v_mov_b32_e32 v6, v5
	v_mad_u64_u32 v[6:7], s[12:13], s19, v20, v[6:7]
	v_mov_b32_e32 v5, v6
	v_lshlrev_b64 v[4:5], 3, v[4:5]
	v_add_co_u32_e32 v1, vcc, v2, v4
	v_addc_co_u32_e32 v2, vcc, v3, v5, vcc
	v_add_co_u32_e32 v5, vcc, s20, v1
	v_addc_co_u32_e32 v6, vcc, v2, v28, vcc
	v_mad_u64_u32 v[2:3], s[12:13], s16, v0, 0
	v_mov_b32_e32 v4, v3
	v_lshl_or_b32 v30, v0, 2, v20
	v_mad_u64_u32 v[0:1], s[12:13], s17, v0, v[4:5]
	v_mov_b32_e32 v3, v0
	v_lshlrev_b64 v[0:1], 3, v[2:3]
	v_add_co_u32_e32 v0, vcc, v5, v0
	v_addc_co_u32_e32 v1, vcc, v6, v1, vcc
	v_mov_b32_e32 v2, s15
	v_add_co_u32_e32 v28, vcc, s14, v0
	v_addc_co_u32_e32 v29, vcc, v2, v1, vcc
	v_mbcnt_hi_u32_b32 v2, -1, v34
	v_pk_mov_b32 v[0:1], 0, 0
	v_and_or_b32 v2, v2, 64, v30
	v_cmp_lt_u64_e64 s[2:3], v[18:19], v[8:9]
	s_lshl_b64 s[8:9], s[16:17], 5
	s_lshl_b64 s[12:13], s[18:19], 5
	s_mov_b64 s[14:15], 0
	v_lshlrev_b32_e32 v35, 2, v2
	v_pk_mov_b32 v[2:3], v[0:1], v[0:1] op_sel:[0,1]
	v_pk_mov_b32 v[4:5], v[0:1], v[0:1] op_sel:[0,1]
	v_pk_mov_b32 v[6:7], v[0:1], v[0:1] op_sel:[0,1]
	s_branch .LBB46_6
.LBB46_3:                               ;   in Loop: Header=BB46_6 Depth=1
	s_or_b64 exec, exec, s[18:19]
.LBB46_4:                               ;   in Loop: Header=BB46_6 Depth=1
	s_or_b64 exec, exec, s[16:17]
	s_waitcnt vmcnt(0)
	ds_bpermute_b32 v32, v35, v32
	ds_bpermute_b32 v33, v35, v33
.LBB46_5:                               ;   in Loop: Header=BB46_6 Depth=1
	v_mov_b32_e32 v36, s37
	v_add_co_u32_e32 v22, vcc, s36, v22
	v_addc_co_u32_e32 v23, vcc, v23, v36, vcc
	v_mov_b32_e32 v36, s39
	v_add_co_u32_e32 v24, vcc, s38, v24
	s_waitcnt vmcnt(0) lgkmcnt(0)
	v_mfma_f64_16x16x4f64 v[0:7], v[30:31], v[32:33], v[0:7]
	s_add_u32 s14, s14, 4
	s_addc_u32 s15, s15, 0
	v_addc_co_u32_e32 v25, vcc, v25, v36, vcc
	v_mov_b32_e32 v36, s9
	v_add_co_u32_e32 v26, vcc, s8, v26
	v_addc_co_u32_e32 v27, vcc, v27, v36, vcc
	v_mov_b32_e32 v30, s13
	v_add_co_u32_e32 v28, vcc, s12, v28
	v_addc_co_u32_e32 v29, vcc, v29, v30, vcc
	v_pk_mov_b32 v[30:31], s[40:41], s[40:41] op_sel:[0,1]
	v_cmp_ge_i64_e32 vcc, s[14:15], v[30:31]
	s_cbranch_vccnz .LBB46_28
.LBB46_6:                               ; =>This Inner Loop Header: Depth=1
	s_and_b64 vcc, exec, s[24:25]
	s_cbranch_vccz .LBB46_18
; %bb.7:                                ;   in Loop: Header=BB46_6 Depth=1
	v_pk_mov_b32 v[30:31], 0, 0
	s_and_saveexec_b64 s[16:17], s[2:3]
	s_cbranch_execz .LBB46_11
; %bb.8:                                ;   in Loop: Header=BB46_6 Depth=1
	v_mov_b32_e32 v31, s15
	v_add_co_u32_e32 v30, vcc, s14, v10
	v_addc_co_u32_e32 v31, vcc, 0, v31, vcc
	v_cmp_gt_i64_e32 vcc, s[40:41], v[30:31]
	v_pk_mov_b32 v[30:31], 0, 0
	s_and_saveexec_b64 s[18:19], vcc
	s_cbranch_execz .LBB46_10
; %bb.9:                                ;   in Loop: Header=BB46_6 Depth=1
	global_load_dwordx2 v[30:31], v[24:25], off
.LBB46_10:                              ;   in Loop: Header=BB46_6 Depth=1
	s_or_b64 exec, exec, s[18:19]
.LBB46_11:                              ;   in Loop: Header=BB46_6 Depth=1
	s_or_b64 exec, exec, s[16:17]
	s_waitcnt vmcnt(0)
	ds_bpermute_b32 v30, v35, v30
	ds_bpermute_b32 v31, v35, v31
.LBB46_12:                              ;   in Loop: Header=BB46_6 Depth=1
	s_and_b64 vcc, exec, s[34:35]
	s_cbranch_vccz .LBB46_24
.LBB46_13:                              ;   in Loop: Header=BB46_6 Depth=1
	v_pk_mov_b32 v[32:33], 0, 0
	s_and_saveexec_b64 s[16:17], s[10:11]
	s_cbranch_execz .LBB46_17
; %bb.14:                               ;   in Loop: Header=BB46_6 Depth=1
	v_mov_b32_e32 v33, s15
	v_add_co_u32_e32 v32, vcc, s14, v20
	v_addc_co_u32_e32 v33, vcc, 0, v33, vcc
	v_cmp_gt_i64_e32 vcc, s[40:41], v[32:33]
	v_pk_mov_b32 v[32:33], 0, 0
	s_and_saveexec_b64 s[18:19], vcc
	s_cbranch_execz .LBB46_16
; %bb.15:                               ;   in Loop: Header=BB46_6 Depth=1
	global_load_dwordx2 v[32:33], v[28:29], off
.LBB46_16:                              ;   in Loop: Header=BB46_6 Depth=1
	s_or_b64 exec, exec, s[18:19]
.LBB46_17:                              ;   in Loop: Header=BB46_6 Depth=1
	s_or_b64 exec, exec, s[16:17]
	s_cbranch_execnz .LBB46_5
	s_branch .LBB46_25
.LBB46_18:                              ;   in Loop: Header=BB46_6 Depth=1
                                        ; implicit-def: $vgpr30_vgpr31
	s_cbranch_execz .LBB46_12
; %bb.19:                               ;   in Loop: Header=BB46_6 Depth=1
	s_waitcnt lgkmcnt(0)
	v_pk_mov_b32 v[30:31], 0, 0
	s_and_saveexec_b64 s[16:17], s[6:7]
	s_cbranch_execz .LBB46_23
; %bb.20:                               ;   in Loop: Header=BB46_6 Depth=1
	v_mov_b32_e32 v31, s15
	v_add_co_u32_e32 v30, vcc, s14, v20
	v_addc_co_u32_e32 v31, vcc, 0, v31, vcc
	v_cmp_gt_i64_e32 vcc, s[40:41], v[30:31]
	v_pk_mov_b32 v[30:31], 0, 0
	s_and_saveexec_b64 s[18:19], vcc
	s_cbranch_execz .LBB46_22
; %bb.21:                               ;   in Loop: Header=BB46_6 Depth=1
	global_load_dwordx2 v[30:31], v[22:23], off
.LBB46_22:                              ;   in Loop: Header=BB46_6 Depth=1
	s_or_b64 exec, exec, s[18:19]
.LBB46_23:                              ;   in Loop: Header=BB46_6 Depth=1
	s_or_b64 exec, exec, s[16:17]
	s_and_b64 vcc, exec, s[34:35]
	s_cbranch_vccnz .LBB46_13
.LBB46_24:                              ;   in Loop: Header=BB46_6 Depth=1
                                        ; implicit-def: $vgpr32_vgpr33
.LBB46_25:                              ;   in Loop: Header=BB46_6 Depth=1
	s_waitcnt vmcnt(0)
	v_pk_mov_b32 v[32:33], 0, 0
	s_and_saveexec_b64 s[16:17], s[0:1]
	s_cbranch_execz .LBB46_4
; %bb.26:                               ;   in Loop: Header=BB46_6 Depth=1
	v_mov_b32_e32 v33, s15
	v_add_co_u32_e32 v32, vcc, s14, v10
	v_addc_co_u32_e32 v33, vcc, 0, v33, vcc
	v_cmp_gt_i64_e32 vcc, s[40:41], v[32:33]
	v_pk_mov_b32 v[32:33], 0, 0
	s_and_saveexec_b64 s[18:19], vcc
	s_cbranch_execz .LBB46_3
; %bb.27:                               ;   in Loop: Header=BB46_6 Depth=1
	global_load_dwordx2 v[32:33], v[26:27], off
	s_branch .LBB46_3
.LBB46_28:
	s_load_dwordx4 s[4:7], s[4:5], 0x90
	s_lshl_b64 s[0:1], s[26:27], 3
	s_waitcnt lgkmcnt(0)
	s_add_u32 s2, s22, s0
	s_addc_u32 s3, s23, s1
	v_mul_lo_u32 v20, v15, s6
	v_mul_lo_u32 v22, v14, s7
	v_mad_u64_u32 v[14:15], s[0:1], v14, s6, 0
	v_add3_u32 v15, v15, v22, v20
	v_mul_lo_u32 v20, v13, s4
	v_mul_lo_u32 v22, v12, s5
	v_mad_u64_u32 v[12:13], s[0:1], v12, s4, 0
	v_lshlrev_b64 v[14:15], 3, v[14:15]
	v_add3_u32 v13, v13, v22, v20
	v_mov_b32_e32 v20, s3
	v_add_co_u32_e32 v14, vcc, s2, v14
	v_addc_co_u32_e32 v15, vcc, v20, v15, vcc
	v_lshlrev_b64 v[12:13], 3, v[12:13]
	v_add_co_u32_e32 v20, vcc, v14, v12
	v_lshl_or_b32 v12, v21, 4, v18
	v_addc_co_u32_e32 v15, vcc, v15, v13, vcc
	v_mbcnt_hi_u32_b32 v13, -1, v34
	v_and_b32_e32 v12, 63, v12
	v_and_or_b32 v12, v13, 64, v12
	v_lshlrev_b32_e32 v14, 2, v12
	v_mad_u64_u32 v[12:13], s[0:1], v18, s6, 0
	v_cmp_lt_u64_e32 vcc, v[18:19], v[16:17]
	v_mov_b32_e32 v16, v13
	v_mad_u64_u32 v[16:17], s[0:1], v18, s7, v[16:17]
	v_mov_b32_e32 v13, v16
	v_lshlrev_b64 v[12:13], 3, v[12:13]
	ds_bpermute_b32 v0, v14, v0
	ds_bpermute_b32 v1, v14, v1
	v_add_co_u32_e64 v12, s[0:1], v20, v12
	v_addc_co_u32_e64 v13, s[0:1], v15, v13, s[0:1]
	v_cmp_lt_u64_e64 s[0:1], v[10:11], v[8:9]
	s_and_b64 s[0:1], vcc, s[0:1]
	s_and_saveexec_b64 s[2:3], s[0:1]
	s_cbranch_execz .LBB46_30
; %bb.29:
	v_mad_u64_u32 v[16:17], s[0:1], v10, s4, 0
	v_mov_b32_e32 v18, v17
	v_mad_u64_u32 v[18:19], s[0:1], v10, s5, v[18:19]
	v_mov_b32_e32 v17, v18
	v_lshlrev_b64 v[16:17], 3, v[16:17]
	v_add_co_u32_e64 v16, s[0:1], v12, v16
	v_addc_co_u32_e64 v17, s[0:1], v13, v17, s[0:1]
	global_load_dwordx2 v[18:19], v[16:17], off
	s_waitcnt vmcnt(0)
	v_mul_f64 v[18:19], s[30:31], v[18:19]
	s_waitcnt lgkmcnt(0)
	v_fmac_f64_e32 v[18:19], s[28:29], v[0:1]
	global_store_dwordx2 v[16:17], v[18:19], off
.LBB46_30:
	s_or_b64 exec, exec, s[2:3]
	s_waitcnt lgkmcnt(1)
	ds_bpermute_b32 v0, v14, v2
	s_waitcnt lgkmcnt(1)
	ds_bpermute_b32 v1, v14, v3
	v_or_b32_e32 v2, 4, v10
	v_mov_b32_e32 v3, v11
	v_cmp_lt_u64_e64 s[0:1], v[2:3], v[8:9]
	s_and_b64 s[0:1], vcc, s[0:1]
	s_and_saveexec_b64 s[2:3], s[0:1]
	s_cbranch_execz .LBB46_32
; %bb.31:
	v_mad_u64_u32 v[16:17], s[0:1], v2, s4, 0
	v_mov_b32_e32 v18, v17
	v_mad_u64_u32 v[2:3], s[0:1], v2, s5, v[18:19]
	v_mov_b32_e32 v17, v2
	v_lshlrev_b64 v[2:3], 3, v[16:17]
	v_add_co_u32_e64 v2, s[0:1], v12, v2
	v_addc_co_u32_e64 v3, s[0:1], v13, v3, s[0:1]
	global_load_dwordx2 v[16:17], v[2:3], off
	s_waitcnt vmcnt(0)
	v_mul_f64 v[16:17], s[30:31], v[16:17]
	s_waitcnt lgkmcnt(0)
	v_fmac_f64_e32 v[16:17], s[28:29], v[0:1]
	global_store_dwordx2 v[2:3], v[16:17], off
.LBB46_32:
	s_or_b64 exec, exec, s[2:3]
	s_waitcnt lgkmcnt(1)
	ds_bpermute_b32 v0, v14, v4
	s_waitcnt lgkmcnt(1)
	ds_bpermute_b32 v1, v14, v5
	v_or_b32_e32 v2, 8, v10
	v_mov_b32_e32 v3, v11
	v_cmp_lt_u64_e64 s[0:1], v[2:3], v[8:9]
	s_and_b64 s[0:1], vcc, s[0:1]
	s_and_saveexec_b64 s[2:3], s[0:1]
	s_cbranch_execz .LBB46_34
; %bb.33:
	v_mad_u64_u32 v[4:5], s[0:1], v2, s4, 0
	v_mov_b32_e32 v16, v5
	v_mad_u64_u32 v[2:3], s[0:1], v2, s5, v[16:17]
	v_mov_b32_e32 v5, v2
	v_lshlrev_b64 v[2:3], 3, v[4:5]
	v_add_co_u32_e64 v2, s[0:1], v12, v2
	v_addc_co_u32_e64 v3, s[0:1], v13, v3, s[0:1]
	global_load_dwordx2 v[4:5], v[2:3], off
	s_waitcnt vmcnt(0)
	v_mul_f64 v[4:5], s[30:31], v[4:5]
	s_waitcnt lgkmcnt(0)
	v_fmac_f64_e32 v[4:5], s[28:29], v[0:1]
	global_store_dwordx2 v[2:3], v[4:5], off
.LBB46_34:
	s_or_b64 exec, exec, s[2:3]
	s_waitcnt lgkmcnt(1)
	ds_bpermute_b32 v0, v14, v6
	s_waitcnt lgkmcnt(1)
	ds_bpermute_b32 v1, v14, v7
	v_or_b32_e32 v10, 12, v10
	v_cmp_lt_u64_e64 s[0:1], v[10:11], v[8:9]
	s_and_b64 s[0:1], vcc, s[0:1]
	s_and_b64 exec, exec, s[0:1]
	s_cbranch_execz .LBB46_36
; %bb.35:
	v_mad_u64_u32 v[2:3], s[0:1], v10, s4, 0
	v_mov_b32_e32 v4, v3
	v_mad_u64_u32 v[4:5], s[0:1], v10, s5, v[4:5]
	v_mov_b32_e32 v3, v4
	v_lshlrev_b64 v[2:3], 3, v[2:3]
	v_add_co_u32_e32 v2, vcc, v12, v2
	v_addc_co_u32_e32 v3, vcc, v13, v3, vcc
	global_load_dwordx2 v[4:5], v[2:3], off
	s_waitcnt vmcnt(0)
	v_mul_f64 v[4:5], s[30:31], v[4:5]
	s_waitcnt lgkmcnt(0)
	v_fmac_f64_e32 v[4:5], s[28:29], v[0:1]
	global_store_dwordx2 v[2:3], v[4:5], off
.LBB46_36:
	s_endpgm
	.section	.rodata,"a",@progbits
	.p2align	6, 0x0
	.amdhsa_kernel _ZN9rocsolver6v33100L16mfma_gemm_kernelIdlPKdPKPdS4_S6_EEv18rocblas_operation_S7_T0_S8_S8_T1_T2_lS8_S8_lT3_lS8_S8_lS9_T4_lS8_S8_l
		.amdhsa_group_segment_fixed_size 0
		.amdhsa_private_segment_fixed_size 0
		.amdhsa_kernarg_size 424
		.amdhsa_user_sgpr_count 6
		.amdhsa_user_sgpr_private_segment_buffer 1
		.amdhsa_user_sgpr_dispatch_ptr 0
		.amdhsa_user_sgpr_queue_ptr 0
		.amdhsa_user_sgpr_kernarg_segment_ptr 1
		.amdhsa_user_sgpr_dispatch_id 0
		.amdhsa_user_sgpr_flat_scratch_init 0
		.amdhsa_user_sgpr_kernarg_preload_length 0
		.amdhsa_user_sgpr_kernarg_preload_offset 0
		.amdhsa_user_sgpr_private_segment_size 0
		.amdhsa_uses_dynamic_stack 0
		.amdhsa_system_sgpr_private_segment_wavefront_offset 0
		.amdhsa_system_sgpr_workgroup_id_x 1
		.amdhsa_system_sgpr_workgroup_id_y 1
		.amdhsa_system_sgpr_workgroup_id_z 1
		.amdhsa_system_sgpr_workgroup_info 0
		.amdhsa_system_vgpr_workitem_id 1
		.amdhsa_next_free_vgpr 37
		.amdhsa_next_free_sgpr 52
		.amdhsa_accum_offset 40
		.amdhsa_reserve_vcc 1
		.amdhsa_reserve_flat_scratch 0
		.amdhsa_float_round_mode_32 0
		.amdhsa_float_round_mode_16_64 0
		.amdhsa_float_denorm_mode_32 3
		.amdhsa_float_denorm_mode_16_64 3
		.amdhsa_dx10_clamp 1
		.amdhsa_ieee_mode 1
		.amdhsa_fp16_overflow 0
		.amdhsa_tg_split 0
		.amdhsa_exception_fp_ieee_invalid_op 0
		.amdhsa_exception_fp_denorm_src 0
		.amdhsa_exception_fp_ieee_div_zero 0
		.amdhsa_exception_fp_ieee_overflow 0
		.amdhsa_exception_fp_ieee_underflow 0
		.amdhsa_exception_fp_ieee_inexact 0
		.amdhsa_exception_int_div_zero 0
	.end_amdhsa_kernel
	.section	.text._ZN9rocsolver6v33100L16mfma_gemm_kernelIdlPKdPKPdS4_S6_EEv18rocblas_operation_S7_T0_S8_S8_T1_T2_lS8_S8_lT3_lS8_S8_lS9_T4_lS8_S8_l,"axG",@progbits,_ZN9rocsolver6v33100L16mfma_gemm_kernelIdlPKdPKPdS4_S6_EEv18rocblas_operation_S7_T0_S8_S8_T1_T2_lS8_S8_lT3_lS8_S8_lS9_T4_lS8_S8_l,comdat
.Lfunc_end46:
	.size	_ZN9rocsolver6v33100L16mfma_gemm_kernelIdlPKdPKPdS4_S6_EEv18rocblas_operation_S7_T0_S8_S8_T1_T2_lS8_S8_lT3_lS8_S8_lS9_T4_lS8_S8_l, .Lfunc_end46-_ZN9rocsolver6v33100L16mfma_gemm_kernelIdlPKdPKPdS4_S6_EEv18rocblas_operation_S7_T0_S8_S8_T1_T2_lS8_S8_lT3_lS8_S8_lS9_T4_lS8_S8_l
                                        ; -- End function
	.section	.AMDGPU.csdata,"",@progbits
; Kernel info:
; codeLenInByte = 2188
; NumSgprs: 56
; NumVgprs: 37
; NumAgprs: 0
; TotalNumVgprs: 37
; ScratchSize: 0
; MemoryBound: 0
; FloatMode: 240
; IeeeMode: 1
; LDSByteSize: 0 bytes/workgroup (compile time only)
; SGPRBlocks: 6
; VGPRBlocks: 4
; NumSGPRsForWavesPerEU: 56
; NumVGPRsForWavesPerEU: 37
; AccumOffset: 40
; Occupancy: 8
; WaveLimiterHint : 1
; COMPUTE_PGM_RSRC2:SCRATCH_EN: 0
; COMPUTE_PGM_RSRC2:USER_SGPR: 6
; COMPUTE_PGM_RSRC2:TRAP_HANDLER: 0
; COMPUTE_PGM_RSRC2:TGID_X_EN: 1
; COMPUTE_PGM_RSRC2:TGID_Y_EN: 1
; COMPUTE_PGM_RSRC2:TGID_Z_EN: 1
; COMPUTE_PGM_RSRC2:TIDIG_COMP_CNT: 1
; COMPUTE_PGM_RSRC3_GFX90A:ACCUM_OFFSET: 9
; COMPUTE_PGM_RSRC3_GFX90A:TG_SPLIT: 0
	.section	.text._ZN9rocsolver6v33100L16mfma_gemm_kernelIdldPKPdS2_S4_EEv18rocblas_operation_S5_T0_S6_S6_T1_T2_lS6_S6_lT3_lS6_S6_lS7_T4_lS6_S6_l,"axG",@progbits,_ZN9rocsolver6v33100L16mfma_gemm_kernelIdldPKPdS2_S4_EEv18rocblas_operation_S5_T0_S6_S6_T1_T2_lS6_S6_lT3_lS6_S6_lS7_T4_lS6_S6_l,comdat
	.globl	_ZN9rocsolver6v33100L16mfma_gemm_kernelIdldPKPdS2_S4_EEv18rocblas_operation_S5_T0_S6_S6_T1_T2_lS6_S6_lT3_lS6_S6_lS7_T4_lS6_S6_l ; -- Begin function _ZN9rocsolver6v33100L16mfma_gemm_kernelIdldPKPdS2_S4_EEv18rocblas_operation_S5_T0_S6_S6_T1_T2_lS6_S6_lT3_lS6_S6_lS7_T4_lS6_S6_l
	.p2align	8
	.type	_ZN9rocsolver6v33100L16mfma_gemm_kernelIdldPKPdS2_S4_EEv18rocblas_operation_S5_T0_S6_S6_T1_T2_lS6_S6_lT3_lS6_S6_lS7_T4_lS6_S6_l,@function
_ZN9rocsolver6v33100L16mfma_gemm_kernelIdldPKPdS2_S4_EEv18rocblas_operation_S5_T0_S6_S6_T1_T2_lS6_S6_lT3_lS6_S6_lS7_T4_lS6_S6_l: ; @_ZN9rocsolver6v33100L16mfma_gemm_kernelIdldPKPdS2_S4_EEv18rocblas_operation_S5_T0_S6_S6_T1_T2_lS6_S6_lT3_lS6_S6_lS7_T4_lS6_S6_l
; %bb.0:
	s_load_dword s0, s[4:5], 0xb4
	s_load_dwordx16 s[12:27], s[4:5], 0x8
	v_and_b32_e32 v1, 0x3ff, v0
	v_lshrrev_b32_e32 v8, 6, v1
	v_mov_b32_e32 v9, 0
	s_waitcnt lgkmcnt(0)
	s_lshr_b32 s2, s0, 16
	s_bfe_u32 s0, s0, 0xa0006
	v_bfe_u32 v2, v0, 10, 10
	v_mov_b32_e32 v0, s6
	v_mov_b32_e32 v3, v9
	v_mad_u64_u32 v[22:23], s[0:1], s0, v0, v[8:9]
	v_mov_b32_e32 v0, s7
	v_mad_u64_u32 v[26:27], s[0:1], s2, v0, v[2:3]
	v_lshlrev_b64 v[12:13], 4, v[22:23]
	v_lshlrev_b64 v[14:15], 4, v[26:27]
	v_cmp_gt_i64_e32 vcc, s[12:13], v[12:13]
	v_cmp_gt_i64_e64 s[0:1], s[14:15], v[14:15]
	s_and_b64 s[0:1], vcc, s[0:1]
	s_and_saveexec_b64 s[2:3], s[0:1]
	s_cbranch_execz .LBB47_36
; %bb.1:
	s_load_dwordx16 s[36:51], s[4:5], 0x50
	v_add_co_u32_e32 v2, vcc, 16, v12
	v_addc_co_u32_e32 v3, vcc, 0, v13, vcc
	s_and_b32 s0, s12, 15
	s_mov_b32 s9, 0
	v_mov_b32_e32 v0, s0
	v_cmp_lt_u64_e32 vcc, s[12:13], v[2:3]
	s_and_b32 s0, s14, 15
	s_lshl_b64 s[2:3], s[8:9], 3
	v_cndmask_b32_e32 v8, 16, v0, vcc
	v_mov_b32_e32 v0, s0
	s_waitcnt lgkmcnt(0)
	s_add_u32 s0, s48, s2
	s_addc_u32 s1, s49, s3
	v_add_co_u32_e32 v2, vcc, 16, v14
	s_load_dwordx2 s[12:13], s[0:1], 0x0
	v_addc_co_u32_e32 v3, vcc, 0, v15, vcc
	v_cmp_lt_u64_e32 vcc, s[14:15], v[2:3]
	v_cndmask_b32_e32 v16, 16, v0, vcc
	v_mov_b32_e32 v17, v9
	v_bfe_u32 v18, v1, 2, 4
	v_mov_b32_e32 v19, v9
	v_cmp_lt_i64_e64 s[0:1], s[16:17], 1
	v_pk_mov_b32 v[6:7], 0, 0
	v_and_b32_e32 v21, 63, v1
	v_and_b32_e32 v10, 3, v1
	v_mov_b32_e32 v11, v9
	s_and_b64 vcc, exec, s[0:1]
	v_cmp_lt_u64_e64 s[0:1], v[18:19], v[16:17]
	v_mbcnt_lo_u32_b32 v34, -1, 0
	v_pk_mov_b32 v[4:5], v[6:7], v[6:7] op_sel:[0,1]
	v_pk_mov_b32 v[2:3], v[6:7], v[6:7] op_sel:[0,1]
	;; [unrolled: 1-line block ×3, first 2 shown]
	s_cbranch_vccnz .LBB47_28
; %bb.2:
	s_load_dwordx2 s[6:7], s[4:5], 0x0
	v_mov_b32_e32 v1, 0
	v_and_b32_e32 v0, 15, v21
	v_lshrrev_b32_e32 v20, 4, v21
	v_cmp_lt_u64_e64 s[10:11], v[0:1], v[16:17]
	s_waitcnt lgkmcnt(0)
	s_cmpk_lg_i32 s6, 0x6f
	s_cselect_b64 s[14:15], -1, 0
	s_cmpk_lg_i32 s7, 0x6f
	s_cselect_b64 s[28:29], -1, 0
	s_cmpk_eq_i32 s7, 0x6f
	s_cselect_b32 s9, s42, s40
	s_cselect_b32 s33, s43, s41
	s_add_u32 s2, s20, s2
	s_addc_u32 s3, s21, s3
	s_cmpk_eq_i32 s6, 0x6f
	s_cselect_b32 s30, s24, s26
	s_cselect_b32 s31, s25, s27
	v_cmp_lt_u64_e64 s[6:7], v[0:1], v[8:9]
	v_mul_lo_u32 v1, s31, v22
	v_mul_lo_u32 v4, s30, v23
	v_mad_u64_u32 v[2:3], s[30:31], s30, v22, 0
	v_add3_u32 v3, v3, v4, v1
	v_mad_u64_u32 v[4:5], s[30:31], s26, v20, 0
	v_mov_b32_e32 v6, v5
	v_mad_u64_u32 v[6:7], s[30:31], s27, v20, v[6:7]
	v_mov_b32_e32 v5, v6
	v_lshlrev_b64 v[2:3], 7, v[2:3]
	v_lshlrev_b64 v[4:5], 3, v[4:5]
	v_add_co_u32_e32 v1, vcc, v2, v4
	s_load_dwordx2 s[20:21], s[2:3], 0x0
	v_addc_co_u32_e32 v22, vcc, v3, v5, vcc
	v_mad_u64_u32 v[4:5], s[30:31], s24, v0, 0
	v_mov_b32_e32 v6, v5
	v_mad_u64_u32 v[6:7], s[30:31], s25, v0, v[6:7]
	v_mov_b32_e32 v5, v6
	v_lshlrev_b64 v[4:5], 3, v[4:5]
	s_lshl_b64 s[22:23], s[22:23], 3
	v_add_co_u32_e32 v1, vcc, v1, v4
	s_waitcnt lgkmcnt(0)
	s_add_u32 s30, s20, s22
	v_addc_co_u32_e32 v4, vcc, v22, v5, vcc
	s_addc_u32 s31, s21, s23
	v_mov_b32_e32 v5, s31
	v_add_co_u32_e32 v22, vcc, s30, v1
	v_addc_co_u32_e32 v23, vcc, v5, v4, vcc
	v_mad_u64_u32 v[4:5], s[22:23], s26, v18, 0
	v_mov_b32_e32 v6, v5
	v_mad_u64_u32 v[6:7], s[22:23], s27, v18, v[6:7]
	v_mov_b32_e32 v5, v6
	v_lshlrev_b64 v[4:5], 3, v[4:5]
	v_add_co_u32_e32 v1, vcc, v2, v4
	v_addc_co_u32_e32 v6, vcc, v3, v5, vcc
	v_mad_u64_u32 v[2:3], s[22:23], s24, v10, 0
	v_mov_b32_e32 v4, v3
	v_mad_u64_u32 v[4:5], s[22:23], s25, v10, v[4:5]
	v_mov_b32_e32 v3, v4
	v_lshlrev_b64 v[2:3], 3, v[2:3]
	v_add_co_u32_e32 v1, vcc, v1, v2
	v_addc_co_u32_e32 v2, vcc, v6, v3, vcc
	v_mov_b32_e32 v3, s31
	v_add_co_u32_e32 v24, vcc, s30, v1
	v_addc_co_u32_e32 v25, vcc, v3, v2, vcc
	s_lshl_b64 s[22:23], s[24:25], 5
	v_mul_lo_u32 v1, s33, v26
	v_mul_lo_u32 v4, s9, v27
	v_mad_u64_u32 v[2:3], s[24:25], s9, v26, 0
	v_add3_u32 v3, v3, v4, v1
	v_mad_u64_u32 v[4:5], s[24:25], s42, v18, 0
	v_mov_b32_e32 v6, v5
	v_mad_u64_u32 v[6:7], s[24:25], s43, v18, v[6:7]
	v_mov_b32_e32 v5, v6
	v_lshlrev_b64 v[2:3], 7, v[2:3]
	v_lshlrev_b64 v[4:5], 3, v[4:5]
	s_mul_i32 s9, s45, s8
	s_mul_hi_u32 s24, s44, s8
	v_add_co_u32_e32 v1, vcc, v2, v4
	s_add_i32 s9, s24, s9
	s_mul_i32 s8, s44, s8
	v_addc_co_u32_e32 v4, vcc, v3, v5, vcc
	s_lshl_b64 s[24:25], s[8:9], 3
	v_mov_b32_e32 v28, s25
	v_add_co_u32_e32 v1, vcc, s24, v1
	v_addc_co_u32_e32 v26, vcc, v4, v28, vcc
	v_mad_u64_u32 v[4:5], s[8:9], s40, v10, 0
	v_mov_b32_e32 v6, v5
	v_mad_u64_u32 v[6:7], s[8:9], s41, v10, v[6:7]
	v_mov_b32_e32 v5, v6
	s_lshl_b64 s[20:21], s[26:27], 5
	v_lshlrev_b64 v[4:5], 3, v[4:5]
	s_lshl_b64 s[8:9], s[38:39], 3
	v_add_co_u32_e32 v1, vcc, v1, v4
	s_add_u32 s30, s36, s8
	v_addc_co_u32_e32 v4, vcc, v26, v5, vcc
	s_addc_u32 s31, s37, s9
	v_mov_b32_e32 v5, s31
	v_add_co_u32_e32 v26, vcc, s30, v1
	v_addc_co_u32_e32 v27, vcc, v5, v4, vcc
	v_mad_u64_u32 v[4:5], s[26:27], s42, v20, 0
	v_mov_b32_e32 v6, v5
	v_mad_u64_u32 v[6:7], s[26:27], s43, v20, v[6:7]
	v_mov_b32_e32 v5, v6
	v_lshlrev_b64 v[4:5], 3, v[4:5]
	v_add_co_u32_e32 v1, vcc, v2, v4
	v_addc_co_u32_e32 v2, vcc, v3, v5, vcc
	v_add_co_u32_e32 v5, vcc, s24, v1
	v_addc_co_u32_e32 v6, vcc, v2, v28, vcc
	v_mad_u64_u32 v[2:3], s[24:25], s40, v0, 0
	v_mov_b32_e32 v4, v3
	v_lshl_or_b32 v30, v0, 2, v20
	v_mad_u64_u32 v[0:1], s[24:25], s41, v0, v[4:5]
	v_mov_b32_e32 v3, v0
	v_lshlrev_b64 v[0:1], 3, v[2:3]
	v_add_co_u32_e32 v0, vcc, v5, v0
	v_addc_co_u32_e32 v1, vcc, v6, v1, vcc
	v_mov_b32_e32 v2, s31
	v_add_co_u32_e32 v28, vcc, s30, v0
	v_addc_co_u32_e32 v29, vcc, v2, v1, vcc
	v_mbcnt_hi_u32_b32 v2, -1, v34
	v_pk_mov_b32 v[0:1], 0, 0
	v_and_or_b32 v2, v2, 64, v30
	v_cmp_lt_u64_e64 s[2:3], v[18:19], v[8:9]
	s_lshl_b64 s[8:9], s[40:41], 5
	s_lshl_b64 s[24:25], s[42:43], 5
	s_mov_b64 s[26:27], 0
	v_lshlrev_b32_e32 v35, 2, v2
	v_pk_mov_b32 v[2:3], v[0:1], v[0:1] op_sel:[0,1]
	v_pk_mov_b32 v[4:5], v[0:1], v[0:1] op_sel:[0,1]
	;; [unrolled: 1-line block ×3, first 2 shown]
	s_branch .LBB47_6
.LBB47_3:                               ;   in Loop: Header=BB47_6 Depth=1
	s_or_b64 exec, exec, s[34:35]
.LBB47_4:                               ;   in Loop: Header=BB47_6 Depth=1
	s_or_b64 exec, exec, s[30:31]
	s_waitcnt vmcnt(0)
	ds_bpermute_b32 v32, v35, v32
	ds_bpermute_b32 v33, v35, v33
.LBB47_5:                               ;   in Loop: Header=BB47_6 Depth=1
	v_mov_b32_e32 v36, s21
	v_add_co_u32_e32 v22, vcc, s20, v22
	v_addc_co_u32_e32 v23, vcc, v23, v36, vcc
	v_mov_b32_e32 v36, s23
	v_add_co_u32_e32 v24, vcc, s22, v24
	s_waitcnt vmcnt(0) lgkmcnt(0)
	v_mfma_f64_16x16x4f64 v[0:7], v[30:31], v[32:33], v[0:7]
	s_add_u32 s26, s26, 4
	s_addc_u32 s27, s27, 0
	v_addc_co_u32_e32 v25, vcc, v25, v36, vcc
	v_mov_b32_e32 v36, s9
	v_add_co_u32_e32 v26, vcc, s8, v26
	v_addc_co_u32_e32 v27, vcc, v27, v36, vcc
	v_mov_b32_e32 v30, s25
	v_add_co_u32_e32 v28, vcc, s24, v28
	v_addc_co_u32_e32 v29, vcc, v29, v30, vcc
	v_pk_mov_b32 v[30:31], s[16:17], s[16:17] op_sel:[0,1]
	v_cmp_ge_i64_e32 vcc, s[26:27], v[30:31]
	s_cbranch_vccnz .LBB47_28
.LBB47_6:                               ; =>This Inner Loop Header: Depth=1
	s_and_b64 vcc, exec, s[14:15]
	s_cbranch_vccz .LBB47_18
; %bb.7:                                ;   in Loop: Header=BB47_6 Depth=1
	v_pk_mov_b32 v[30:31], 0, 0
	s_and_saveexec_b64 s[30:31], s[2:3]
	s_cbranch_execz .LBB47_11
; %bb.8:                                ;   in Loop: Header=BB47_6 Depth=1
	v_mov_b32_e32 v31, s27
	v_add_co_u32_e32 v30, vcc, s26, v10
	v_addc_co_u32_e32 v31, vcc, 0, v31, vcc
	v_cmp_gt_i64_e32 vcc, s[16:17], v[30:31]
	v_pk_mov_b32 v[30:31], 0, 0
	s_and_saveexec_b64 s[34:35], vcc
	s_cbranch_execz .LBB47_10
; %bb.9:                                ;   in Loop: Header=BB47_6 Depth=1
	global_load_dwordx2 v[30:31], v[24:25], off
.LBB47_10:                              ;   in Loop: Header=BB47_6 Depth=1
	s_or_b64 exec, exec, s[34:35]
.LBB47_11:                              ;   in Loop: Header=BB47_6 Depth=1
	s_or_b64 exec, exec, s[30:31]
	s_waitcnt vmcnt(0)
	ds_bpermute_b32 v30, v35, v30
	ds_bpermute_b32 v31, v35, v31
.LBB47_12:                              ;   in Loop: Header=BB47_6 Depth=1
	s_and_b64 vcc, exec, s[28:29]
	s_cbranch_vccz .LBB47_24
.LBB47_13:                              ;   in Loop: Header=BB47_6 Depth=1
	v_pk_mov_b32 v[32:33], 0, 0
	s_and_saveexec_b64 s[30:31], s[10:11]
	s_cbranch_execz .LBB47_17
; %bb.14:                               ;   in Loop: Header=BB47_6 Depth=1
	v_mov_b32_e32 v33, s27
	v_add_co_u32_e32 v32, vcc, s26, v20
	v_addc_co_u32_e32 v33, vcc, 0, v33, vcc
	v_cmp_gt_i64_e32 vcc, s[16:17], v[32:33]
	v_pk_mov_b32 v[32:33], 0, 0
	s_and_saveexec_b64 s[34:35], vcc
	s_cbranch_execz .LBB47_16
; %bb.15:                               ;   in Loop: Header=BB47_6 Depth=1
	global_load_dwordx2 v[32:33], v[28:29], off
.LBB47_16:                              ;   in Loop: Header=BB47_6 Depth=1
	s_or_b64 exec, exec, s[34:35]
.LBB47_17:                              ;   in Loop: Header=BB47_6 Depth=1
	s_or_b64 exec, exec, s[30:31]
	s_cbranch_execnz .LBB47_5
	s_branch .LBB47_25
.LBB47_18:                              ;   in Loop: Header=BB47_6 Depth=1
                                        ; implicit-def: $vgpr30_vgpr31
	s_cbranch_execz .LBB47_12
; %bb.19:                               ;   in Loop: Header=BB47_6 Depth=1
	s_waitcnt lgkmcnt(0)
	v_pk_mov_b32 v[30:31], 0, 0
	s_and_saveexec_b64 s[30:31], s[6:7]
	s_cbranch_execz .LBB47_23
; %bb.20:                               ;   in Loop: Header=BB47_6 Depth=1
	v_mov_b32_e32 v31, s27
	v_add_co_u32_e32 v30, vcc, s26, v20
	v_addc_co_u32_e32 v31, vcc, 0, v31, vcc
	v_cmp_gt_i64_e32 vcc, s[16:17], v[30:31]
	v_pk_mov_b32 v[30:31], 0, 0
	s_and_saveexec_b64 s[34:35], vcc
	s_cbranch_execz .LBB47_22
; %bb.21:                               ;   in Loop: Header=BB47_6 Depth=1
	global_load_dwordx2 v[30:31], v[22:23], off
.LBB47_22:                              ;   in Loop: Header=BB47_6 Depth=1
	s_or_b64 exec, exec, s[34:35]
.LBB47_23:                              ;   in Loop: Header=BB47_6 Depth=1
	s_or_b64 exec, exec, s[30:31]
	s_and_b64 vcc, exec, s[28:29]
	s_cbranch_vccnz .LBB47_13
.LBB47_24:                              ;   in Loop: Header=BB47_6 Depth=1
                                        ; implicit-def: $vgpr32_vgpr33
.LBB47_25:                              ;   in Loop: Header=BB47_6 Depth=1
	s_waitcnt vmcnt(0)
	v_pk_mov_b32 v[32:33], 0, 0
	s_and_saveexec_b64 s[30:31], s[0:1]
	s_cbranch_execz .LBB47_4
; %bb.26:                               ;   in Loop: Header=BB47_6 Depth=1
	v_mov_b32_e32 v33, s27
	v_add_co_u32_e32 v32, vcc, s26, v10
	v_addc_co_u32_e32 v33, vcc, 0, v33, vcc
	v_cmp_gt_i64_e32 vcc, s[16:17], v[32:33]
	v_pk_mov_b32 v[32:33], 0, 0
	s_and_saveexec_b64 s[34:35], vcc
	s_cbranch_execz .LBB47_3
; %bb.27:                               ;   in Loop: Header=BB47_6 Depth=1
	global_load_dwordx2 v[32:33], v[26:27], off
	s_branch .LBB47_3
.LBB47_28:
	s_load_dwordx4 s[4:7], s[4:5], 0x90
	s_lshl_b64 s[0:1], s[50:51], 3
	s_waitcnt lgkmcnt(0)
	s_add_u32 s2, s12, s0
	s_addc_u32 s3, s13, s1
	v_mul_lo_u32 v20, v15, s6
	v_mul_lo_u32 v22, v14, s7
	v_mad_u64_u32 v[14:15], s[0:1], v14, s6, 0
	v_add3_u32 v15, v15, v22, v20
	v_mul_lo_u32 v20, v13, s4
	v_mul_lo_u32 v22, v12, s5
	v_mad_u64_u32 v[12:13], s[0:1], v12, s4, 0
	v_lshlrev_b64 v[14:15], 3, v[14:15]
	v_add3_u32 v13, v13, v22, v20
	v_mov_b32_e32 v20, s3
	v_add_co_u32_e32 v14, vcc, s2, v14
	v_addc_co_u32_e32 v15, vcc, v20, v15, vcc
	v_lshlrev_b64 v[12:13], 3, v[12:13]
	v_add_co_u32_e32 v20, vcc, v14, v12
	v_lshl_or_b32 v12, v21, 4, v18
	v_addc_co_u32_e32 v15, vcc, v15, v13, vcc
	v_mbcnt_hi_u32_b32 v13, -1, v34
	v_and_b32_e32 v12, 63, v12
	v_and_or_b32 v12, v13, 64, v12
	v_lshlrev_b32_e32 v14, 2, v12
	v_mad_u64_u32 v[12:13], s[0:1], v18, s6, 0
	v_cmp_lt_u64_e32 vcc, v[18:19], v[16:17]
	v_mov_b32_e32 v16, v13
	v_mad_u64_u32 v[16:17], s[0:1], v18, s7, v[16:17]
	v_mov_b32_e32 v13, v16
	v_lshlrev_b64 v[12:13], 3, v[12:13]
	ds_bpermute_b32 v0, v14, v0
	ds_bpermute_b32 v1, v14, v1
	v_add_co_u32_e64 v12, s[0:1], v20, v12
	v_addc_co_u32_e64 v13, s[0:1], v15, v13, s[0:1]
	v_cmp_lt_u64_e64 s[0:1], v[10:11], v[8:9]
	s_and_b64 s[0:1], vcc, s[0:1]
	s_and_saveexec_b64 s[2:3], s[0:1]
	s_cbranch_execz .LBB47_30
; %bb.29:
	v_mad_u64_u32 v[16:17], s[0:1], v10, s4, 0
	v_mov_b32_e32 v18, v17
	v_mad_u64_u32 v[18:19], s[0:1], v10, s5, v[18:19]
	v_mov_b32_e32 v17, v18
	v_lshlrev_b64 v[16:17], 3, v[16:17]
	v_add_co_u32_e64 v16, s[0:1], v12, v16
	v_addc_co_u32_e64 v17, s[0:1], v13, v17, s[0:1]
	global_load_dwordx2 v[18:19], v[16:17], off
	s_waitcnt vmcnt(0)
	v_mul_f64 v[18:19], v[18:19], s[46:47]
	s_waitcnt lgkmcnt(0)
	v_fmac_f64_e32 v[18:19], s[18:19], v[0:1]
	global_store_dwordx2 v[16:17], v[18:19], off
.LBB47_30:
	s_or_b64 exec, exec, s[2:3]
	s_waitcnt lgkmcnt(1)
	ds_bpermute_b32 v0, v14, v2
	s_waitcnt lgkmcnt(1)
	ds_bpermute_b32 v1, v14, v3
	v_or_b32_e32 v2, 4, v10
	v_mov_b32_e32 v3, v11
	v_cmp_lt_u64_e64 s[0:1], v[2:3], v[8:9]
	s_and_b64 s[0:1], vcc, s[0:1]
	s_and_saveexec_b64 s[2:3], s[0:1]
	s_cbranch_execz .LBB47_32
; %bb.31:
	v_mad_u64_u32 v[16:17], s[0:1], v2, s4, 0
	v_mov_b32_e32 v18, v17
	v_mad_u64_u32 v[2:3], s[0:1], v2, s5, v[18:19]
	v_mov_b32_e32 v17, v2
	v_lshlrev_b64 v[2:3], 3, v[16:17]
	v_add_co_u32_e64 v2, s[0:1], v12, v2
	v_addc_co_u32_e64 v3, s[0:1], v13, v3, s[0:1]
	global_load_dwordx2 v[16:17], v[2:3], off
	s_waitcnt vmcnt(0)
	v_mul_f64 v[16:17], v[16:17], s[46:47]
	s_waitcnt lgkmcnt(0)
	v_fmac_f64_e32 v[16:17], s[18:19], v[0:1]
	global_store_dwordx2 v[2:3], v[16:17], off
.LBB47_32:
	s_or_b64 exec, exec, s[2:3]
	s_waitcnt lgkmcnt(1)
	ds_bpermute_b32 v0, v14, v4
	s_waitcnt lgkmcnt(1)
	ds_bpermute_b32 v1, v14, v5
	v_or_b32_e32 v2, 8, v10
	v_mov_b32_e32 v3, v11
	v_cmp_lt_u64_e64 s[0:1], v[2:3], v[8:9]
	s_and_b64 s[0:1], vcc, s[0:1]
	s_and_saveexec_b64 s[2:3], s[0:1]
	s_cbranch_execz .LBB47_34
; %bb.33:
	v_mad_u64_u32 v[4:5], s[0:1], v2, s4, 0
	v_mov_b32_e32 v16, v5
	v_mad_u64_u32 v[2:3], s[0:1], v2, s5, v[16:17]
	v_mov_b32_e32 v5, v2
	v_lshlrev_b64 v[2:3], 3, v[4:5]
	v_add_co_u32_e64 v2, s[0:1], v12, v2
	v_addc_co_u32_e64 v3, s[0:1], v13, v3, s[0:1]
	global_load_dwordx2 v[4:5], v[2:3], off
	s_waitcnt vmcnt(0)
	v_mul_f64 v[4:5], v[4:5], s[46:47]
	s_waitcnt lgkmcnt(0)
	v_fmac_f64_e32 v[4:5], s[18:19], v[0:1]
	global_store_dwordx2 v[2:3], v[4:5], off
.LBB47_34:
	s_or_b64 exec, exec, s[2:3]
	s_waitcnt lgkmcnt(1)
	ds_bpermute_b32 v0, v14, v6
	s_waitcnt lgkmcnt(1)
	ds_bpermute_b32 v1, v14, v7
	v_or_b32_e32 v10, 12, v10
	v_cmp_lt_u64_e64 s[0:1], v[10:11], v[8:9]
	s_and_b64 s[0:1], vcc, s[0:1]
	s_and_b64 exec, exec, s[0:1]
	s_cbranch_execz .LBB47_36
; %bb.35:
	v_mad_u64_u32 v[2:3], s[0:1], v10, s4, 0
	v_mov_b32_e32 v4, v3
	v_mad_u64_u32 v[4:5], s[0:1], v10, s5, v[4:5]
	v_mov_b32_e32 v3, v4
	v_lshlrev_b64 v[2:3], 3, v[2:3]
	v_add_co_u32_e32 v2, vcc, v12, v2
	v_addc_co_u32_e32 v3, vcc, v13, v3, vcc
	global_load_dwordx2 v[4:5], v[2:3], off
	s_waitcnt vmcnt(0)
	v_mul_f64 v[4:5], v[4:5], s[46:47]
	s_waitcnt lgkmcnt(0)
	v_fmac_f64_e32 v[4:5], s[18:19], v[0:1]
	global_store_dwordx2 v[2:3], v[4:5], off
.LBB47_36:
	s_endpgm
	.section	.rodata,"a",@progbits
	.p2align	6, 0x0
	.amdhsa_kernel _ZN9rocsolver6v33100L16mfma_gemm_kernelIdldPKPdS2_S4_EEv18rocblas_operation_S5_T0_S6_S6_T1_T2_lS6_S6_lT3_lS6_S6_lS7_T4_lS6_S6_l
		.amdhsa_group_segment_fixed_size 0
		.amdhsa_private_segment_fixed_size 0
		.amdhsa_kernarg_size 424
		.amdhsa_user_sgpr_count 6
		.amdhsa_user_sgpr_private_segment_buffer 1
		.amdhsa_user_sgpr_dispatch_ptr 0
		.amdhsa_user_sgpr_queue_ptr 0
		.amdhsa_user_sgpr_kernarg_segment_ptr 1
		.amdhsa_user_sgpr_dispatch_id 0
		.amdhsa_user_sgpr_flat_scratch_init 0
		.amdhsa_user_sgpr_kernarg_preload_length 0
		.amdhsa_user_sgpr_kernarg_preload_offset 0
		.amdhsa_user_sgpr_private_segment_size 0
		.amdhsa_uses_dynamic_stack 0
		.amdhsa_system_sgpr_private_segment_wavefront_offset 0
		.amdhsa_system_sgpr_workgroup_id_x 1
		.amdhsa_system_sgpr_workgroup_id_y 1
		.amdhsa_system_sgpr_workgroup_id_z 1
		.amdhsa_system_sgpr_workgroup_info 0
		.amdhsa_system_vgpr_workitem_id 1
		.amdhsa_next_free_vgpr 37
		.amdhsa_next_free_sgpr 52
		.amdhsa_accum_offset 40
		.amdhsa_reserve_vcc 1
		.amdhsa_reserve_flat_scratch 0
		.amdhsa_float_round_mode_32 0
		.amdhsa_float_round_mode_16_64 0
		.amdhsa_float_denorm_mode_32 3
		.amdhsa_float_denorm_mode_16_64 3
		.amdhsa_dx10_clamp 1
		.amdhsa_ieee_mode 1
		.amdhsa_fp16_overflow 0
		.amdhsa_tg_split 0
		.amdhsa_exception_fp_ieee_invalid_op 0
		.amdhsa_exception_fp_denorm_src 0
		.amdhsa_exception_fp_ieee_div_zero 0
		.amdhsa_exception_fp_ieee_overflow 0
		.amdhsa_exception_fp_ieee_underflow 0
		.amdhsa_exception_fp_ieee_inexact 0
		.amdhsa_exception_int_div_zero 0
	.end_amdhsa_kernel
	.section	.text._ZN9rocsolver6v33100L16mfma_gemm_kernelIdldPKPdS2_S4_EEv18rocblas_operation_S5_T0_S6_S6_T1_T2_lS6_S6_lT3_lS6_S6_lS7_T4_lS6_S6_l,"axG",@progbits,_ZN9rocsolver6v33100L16mfma_gemm_kernelIdldPKPdS2_S4_EEv18rocblas_operation_S5_T0_S6_S6_T1_T2_lS6_S6_lT3_lS6_S6_lS7_T4_lS6_S6_l,comdat
.Lfunc_end47:
	.size	_ZN9rocsolver6v33100L16mfma_gemm_kernelIdldPKPdS2_S4_EEv18rocblas_operation_S5_T0_S6_S6_T1_T2_lS6_S6_lT3_lS6_S6_lS7_T4_lS6_S6_l, .Lfunc_end47-_ZN9rocsolver6v33100L16mfma_gemm_kernelIdldPKPdS2_S4_EEv18rocblas_operation_S5_T0_S6_S6_T1_T2_lS6_S6_lT3_lS6_S6_lS7_T4_lS6_S6_l
                                        ; -- End function
	.section	.AMDGPU.csdata,"",@progbits
; Kernel info:
; codeLenInByte = 2172
; NumSgprs: 56
; NumVgprs: 37
; NumAgprs: 0
; TotalNumVgprs: 37
; ScratchSize: 0
; MemoryBound: 0
; FloatMode: 240
; IeeeMode: 1
; LDSByteSize: 0 bytes/workgroup (compile time only)
; SGPRBlocks: 6
; VGPRBlocks: 4
; NumSGPRsForWavesPerEU: 56
; NumVGPRsForWavesPerEU: 37
; AccumOffset: 40
; Occupancy: 8
; WaveLimiterHint : 1
; COMPUTE_PGM_RSRC2:SCRATCH_EN: 0
; COMPUTE_PGM_RSRC2:USER_SGPR: 6
; COMPUTE_PGM_RSRC2:TRAP_HANDLER: 0
; COMPUTE_PGM_RSRC2:TGID_X_EN: 1
; COMPUTE_PGM_RSRC2:TGID_Y_EN: 1
; COMPUTE_PGM_RSRC2:TGID_Z_EN: 1
; COMPUTE_PGM_RSRC2:TIDIG_COMP_CNT: 1
; COMPUTE_PGM_RSRC3_GFX90A:ACCUM_OFFSET: 9
; COMPUTE_PGM_RSRC3_GFX90A:TG_SPLIT: 0
	.section	.text._ZN9rocsolver6v33100L11gemm_kernelIdlPKdPKPdS4_S6_EEvT0_S7_S7_T1_bT2_lS7_S7_lbT3_lS7_S7_lS8_T4_lS7_S7_l,"axG",@progbits,_ZN9rocsolver6v33100L11gemm_kernelIdlPKdPKPdS4_S6_EEvT0_S7_S7_T1_bT2_lS7_S7_lbT3_lS7_S7_lS8_T4_lS7_S7_l,comdat
	.globl	_ZN9rocsolver6v33100L11gemm_kernelIdlPKdPKPdS4_S6_EEvT0_S7_S7_T1_bT2_lS7_S7_lbT3_lS7_S7_lS8_T4_lS7_S7_l ; -- Begin function _ZN9rocsolver6v33100L11gemm_kernelIdlPKdPKPdS4_S6_EEvT0_S7_S7_T1_bT2_lS7_S7_lbT3_lS7_S7_lS8_T4_lS7_S7_l
	.p2align	8
	.type	_ZN9rocsolver6v33100L11gemm_kernelIdlPKdPKPdS4_S6_EEvT0_S7_S7_T1_bT2_lS7_S7_lbT3_lS7_S7_lS8_T4_lS7_S7_l,@function
_ZN9rocsolver6v33100L11gemm_kernelIdlPKdPKPdS4_S6_EEvT0_S7_S7_T1_bT2_lS7_S7_lbT3_lS7_S7_lS8_T4_lS7_S7_l: ; @_ZN9rocsolver6v33100L11gemm_kernelIdlPKdPKPdS4_S6_EEvT0_S7_S7_T1_bT2_lS7_S7_lbT3_lS7_S7_lS8_T4_lS7_S7_l
; %bb.0:
	s_load_dword s0, s[4:5], 0xbc
	s_load_dwordx8 s[24:31], s[4:5], 0x0
	v_and_b32_e32 v4, 0x3ff, v0
	v_mov_b32_e32 v5, 0
	v_mov_b32_e32 v1, s6
	s_waitcnt lgkmcnt(0)
	s_lshr_b32 s2, s0, 16
	s_and_b32 s0, s0, 0xffff
	v_mad_u64_u32 v[2:3], s[0:1], s0, v1, v[4:5]
	v_bfe_u32 v4, v0, 10, 10
	v_mov_b32_e32 v0, s7
	v_mad_u64_u32 v[0:1], s[0:1], s2, v0, v[4:5]
	v_cmp_gt_i64_e32 vcc, s[24:25], v[2:3]
	v_cmp_gt_i64_e64 s[0:1], s[26:27], v[0:1]
	s_mov_b32 s9, 0
	s_and_b64 s[0:1], vcc, s[0:1]
	s_and_saveexec_b64 s[2:3], s[0:1]
	s_cbranch_execz .LBB48_6
; %bb.1:
	s_load_dwordx16 s[12:27], s[4:5], 0x58
	s_lshl_b64 s[2:3], s[8:9], 3
	v_cmp_lt_i64_e64 s[6:7], s[28:29], 1
	s_waitcnt lgkmcnt(0)
	s_add_u32 s0, s24, s2
	s_addc_u32 s1, s25, s3
	s_load_dwordx2 s[0:1], s[0:1], 0x0
	s_and_b64 vcc, exec, s[6:7]
	s_cbranch_vccnz .LBB48_4
; %bb.2:
	s_load_dwordx8 s[36:43], s[4:5], 0x28
	s_mul_i32 s7, s8, s21
	s_mul_hi_u32 s10, s8, s20
	s_mul_i32 s6, s8, s20
	v_mul_lo_u32 v8, v1, s18
	s_waitcnt lgkmcnt(0)
	s_add_u32 s2, s36, s2
	s_addc_u32 s3, s37, s3
	s_load_dwordx2 s[2:3], s[2:3], 0x0
	s_lshl_b64 s[8:9], s[38:39], 3
	v_mul_lo_u32 v6, v3, s40
	v_mul_lo_u32 v7, v2, s41
	;; [unrolled: 1-line block ×3, first 2 shown]
	s_waitcnt lgkmcnt(0)
	s_add_u32 s8, s2, s8
	s_addc_u32 s9, s3, s9
	s_add_i32 s7, s10, s7
	s_lshl_b64 s[2:3], s[6:7], 3
	s_add_u32 s6, s12, s2
	s_addc_u32 s7, s13, s3
	s_lshl_b64 s[2:3], s[14:15], 3
	s_add_u32 s6, s6, s2
	s_addc_u32 s7, s7, s3
	v_mad_u64_u32 v[4:5], s[2:3], v2, s40, 0
	v_add3_u32 v5, v5, v7, v6
	v_lshlrev_b64 v[4:5], 3, v[4:5]
	v_mov_b32_e32 v7, s9
	v_add_co_u32_e32 v6, vcc, s8, v4
	v_addc_co_u32_e32 v7, vcc, v7, v5, vcc
	v_mad_u64_u32 v[4:5], s[2:3], v0, s18, 0
	v_add3_u32 v5, v5, v9, v8
	v_lshlrev_b64 v[4:5], 3, v[4:5]
	v_mov_b32_e32 v9, s7
	v_add_co_u32_e32 v8, vcc, s6, v4
	s_lshl_b64 s[2:3], s[16:17], 3
	s_lshl_b64 s[6:7], s[42:43], 3
	v_addc_co_u32_e32 v9, vcc, v9, v5, vcc
	v_pk_mov_b32 v[4:5], 0, 0
	v_mov_b32_e32 v10, s3
	v_mov_b32_e32 v11, s7
.LBB48_3:                               ; =>This Inner Loop Header: Depth=1
	global_load_dwordx2 v[12:13], v[6:7], off
	global_load_dwordx2 v[14:15], v[8:9], off
	v_add_co_u32_e32 v8, vcc, s2, v8
	v_addc_co_u32_e32 v9, vcc, v9, v10, vcc
	s_add_u32 s28, s28, -1
	v_add_co_u32_e32 v6, vcc, s6, v6
	s_addc_u32 s29, s29, -1
	v_addc_co_u32_e32 v7, vcc, v7, v11, vcc
	s_cmp_eq_u64 s[28:29], 0
	s_waitcnt vmcnt(0)
	v_fmac_f64_e32 v[4:5], v[12:13], v[14:15]
	s_cbranch_scc0 .LBB48_3
	s_branch .LBB48_5
.LBB48_4:
	v_pk_mov_b32 v[4:5], 0, 0
.LBB48_5:
	s_load_dwordx2 s[2:3], s[30:31], 0x0
	s_load_dwordx2 s[6:7], s[22:23], 0x0
                                        ; kill: killed $sgpr30_sgpr31
                                        ; kill: killed $sgpr22_sgpr23
	s_load_dwordx4 s[8:11], s[4:5], 0x98
	s_lshl_b64 s[4:5], s[26:27], 3
	s_waitcnt lgkmcnt(0)
	s_add_u32 s4, s0, s4
	s_addc_u32 s5, s1, s5
	v_mul_lo_u32 v6, v3, s8
	v_mul_lo_u32 v7, v2, s9
	v_mad_u64_u32 v[2:3], s[0:1], v2, s8, 0
	v_add3_u32 v3, v3, v7, v6
	v_mul_lo_u32 v6, v1, s10
	v_mul_lo_u32 v7, v0, s11
	v_mad_u64_u32 v[0:1], s[0:1], v0, s10, 0
	v_lshlrev_b64 v[2:3], 3, v[2:3]
	v_add3_u32 v1, v1, v7, v6
	v_mov_b32_e32 v6, s5
	v_add_co_u32_e32 v2, vcc, s4, v2
	v_addc_co_u32_e32 v3, vcc, v6, v3, vcc
	v_lshlrev_b64 v[0:1], 3, v[0:1]
	v_add_co_u32_e32 v0, vcc, v2, v0
	v_addc_co_u32_e32 v1, vcc, v3, v1, vcc
	global_load_dwordx2 v[2:3], v[0:1], off
	s_waitcnt vmcnt(0)
	v_mul_f64 v[2:3], s[6:7], v[2:3]
	v_fmac_f64_e32 v[2:3], s[2:3], v[4:5]
	global_store_dwordx2 v[0:1], v[2:3], off
.LBB48_6:
	s_endpgm
	.section	.rodata,"a",@progbits
	.p2align	6, 0x0
	.amdhsa_kernel _ZN9rocsolver6v33100L11gemm_kernelIdlPKdPKPdS4_S6_EEvT0_S7_S7_T1_bT2_lS7_S7_lbT3_lS7_S7_lS8_T4_lS7_S7_l
		.amdhsa_group_segment_fixed_size 0
		.amdhsa_private_segment_fixed_size 0
		.amdhsa_kernarg_size 432
		.amdhsa_user_sgpr_count 6
		.amdhsa_user_sgpr_private_segment_buffer 1
		.amdhsa_user_sgpr_dispatch_ptr 0
		.amdhsa_user_sgpr_queue_ptr 0
		.amdhsa_user_sgpr_kernarg_segment_ptr 1
		.amdhsa_user_sgpr_dispatch_id 0
		.amdhsa_user_sgpr_flat_scratch_init 0
		.amdhsa_user_sgpr_kernarg_preload_length 0
		.amdhsa_user_sgpr_kernarg_preload_offset 0
		.amdhsa_user_sgpr_private_segment_size 0
		.amdhsa_uses_dynamic_stack 0
		.amdhsa_system_sgpr_private_segment_wavefront_offset 0
		.amdhsa_system_sgpr_workgroup_id_x 1
		.amdhsa_system_sgpr_workgroup_id_y 1
		.amdhsa_system_sgpr_workgroup_id_z 1
		.amdhsa_system_sgpr_workgroup_info 0
		.amdhsa_system_vgpr_workitem_id 1
		.amdhsa_next_free_vgpr 16
		.amdhsa_next_free_sgpr 44
		.amdhsa_accum_offset 16
		.amdhsa_reserve_vcc 1
		.amdhsa_reserve_flat_scratch 0
		.amdhsa_float_round_mode_32 0
		.amdhsa_float_round_mode_16_64 0
		.amdhsa_float_denorm_mode_32 3
		.amdhsa_float_denorm_mode_16_64 3
		.amdhsa_dx10_clamp 1
		.amdhsa_ieee_mode 1
		.amdhsa_fp16_overflow 0
		.amdhsa_tg_split 0
		.amdhsa_exception_fp_ieee_invalid_op 0
		.amdhsa_exception_fp_denorm_src 0
		.amdhsa_exception_fp_ieee_div_zero 0
		.amdhsa_exception_fp_ieee_overflow 0
		.amdhsa_exception_fp_ieee_underflow 0
		.amdhsa_exception_fp_ieee_inexact 0
		.amdhsa_exception_int_div_zero 0
	.end_amdhsa_kernel
	.section	.text._ZN9rocsolver6v33100L11gemm_kernelIdlPKdPKPdS4_S6_EEvT0_S7_S7_T1_bT2_lS7_S7_lbT3_lS7_S7_lS8_T4_lS7_S7_l,"axG",@progbits,_ZN9rocsolver6v33100L11gemm_kernelIdlPKdPKPdS4_S6_EEvT0_S7_S7_T1_bT2_lS7_S7_lbT3_lS7_S7_lS8_T4_lS7_S7_l,comdat
.Lfunc_end48:
	.size	_ZN9rocsolver6v33100L11gemm_kernelIdlPKdPKPdS4_S6_EEvT0_S7_S7_T1_bT2_lS7_S7_lbT3_lS7_S7_lS8_T4_lS7_S7_l, .Lfunc_end48-_ZN9rocsolver6v33100L11gemm_kernelIdlPKdPKPdS4_S6_EEvT0_S7_S7_T1_bT2_lS7_S7_lbT3_lS7_S7_lS8_T4_lS7_S7_l
                                        ; -- End function
	.section	.AMDGPU.csdata,"",@progbits
; Kernel info:
; codeLenInByte = 608
; NumSgprs: 48
; NumVgprs: 16
; NumAgprs: 0
; TotalNumVgprs: 16
; ScratchSize: 0
; MemoryBound: 0
; FloatMode: 240
; IeeeMode: 1
; LDSByteSize: 0 bytes/workgroup (compile time only)
; SGPRBlocks: 5
; VGPRBlocks: 1
; NumSGPRsForWavesPerEU: 48
; NumVGPRsForWavesPerEU: 16
; AccumOffset: 16
; Occupancy: 8
; WaveLimiterHint : 1
; COMPUTE_PGM_RSRC2:SCRATCH_EN: 0
; COMPUTE_PGM_RSRC2:USER_SGPR: 6
; COMPUTE_PGM_RSRC2:TRAP_HANDLER: 0
; COMPUTE_PGM_RSRC2:TGID_X_EN: 1
; COMPUTE_PGM_RSRC2:TGID_Y_EN: 1
; COMPUTE_PGM_RSRC2:TGID_Z_EN: 1
; COMPUTE_PGM_RSRC2:TIDIG_COMP_CNT: 1
; COMPUTE_PGM_RSRC3_GFX90A:ACCUM_OFFSET: 3
; COMPUTE_PGM_RSRC3_GFX90A:TG_SPLIT: 0
	.section	.text._ZN9rocsolver6v33100L11gemm_kernelIdldPKPdS2_S4_EEvT0_S5_S5_T1_bT2_lS5_S5_lbT3_lS5_S5_lS6_T4_lS5_S5_l,"axG",@progbits,_ZN9rocsolver6v33100L11gemm_kernelIdldPKPdS2_S4_EEvT0_S5_S5_T1_bT2_lS5_S5_lbT3_lS5_S5_lS6_T4_lS5_S5_l,comdat
	.globl	_ZN9rocsolver6v33100L11gemm_kernelIdldPKPdS2_S4_EEvT0_S5_S5_T1_bT2_lS5_S5_lbT3_lS5_S5_lS6_T4_lS5_S5_l ; -- Begin function _ZN9rocsolver6v33100L11gemm_kernelIdldPKPdS2_S4_EEvT0_S5_S5_T1_bT2_lS5_S5_lbT3_lS5_S5_lS6_T4_lS5_S5_l
	.p2align	8
	.type	_ZN9rocsolver6v33100L11gemm_kernelIdldPKPdS2_S4_EEvT0_S5_S5_T1_bT2_lS5_S5_lbT3_lS5_S5_lS6_T4_lS5_S5_l,@function
_ZN9rocsolver6v33100L11gemm_kernelIdldPKPdS2_S4_EEvT0_S5_S5_T1_bT2_lS5_S5_lbT3_lS5_S5_lS6_T4_lS5_S5_l: ; @_ZN9rocsolver6v33100L11gemm_kernelIdldPKPdS2_S4_EEvT0_S5_S5_T1_bT2_lS5_S5_lbT3_lS5_S5_lS6_T4_lS5_S5_l
; %bb.0:
	s_load_dword s0, s[4:5], 0xbc
	s_load_dwordx8 s[24:31], s[4:5], 0x0
	v_and_b32_e32 v4, 0x3ff, v0
	v_mov_b32_e32 v5, 0
	v_mov_b32_e32 v1, s6
	s_waitcnt lgkmcnt(0)
	s_lshr_b32 s2, s0, 16
	s_and_b32 s0, s0, 0xffff
	v_mad_u64_u32 v[2:3], s[0:1], s0, v1, v[4:5]
	v_bfe_u32 v4, v0, 10, 10
	v_mov_b32_e32 v0, s7
	v_mad_u64_u32 v[0:1], s[0:1], s2, v0, v[4:5]
	v_cmp_gt_i64_e32 vcc, s[24:25], v[2:3]
	v_cmp_gt_i64_e64 s[0:1], s[26:27], v[0:1]
	s_mov_b32 s9, 0
	s_and_b64 s[0:1], vcc, s[0:1]
	s_and_saveexec_b64 s[2:3], s[0:1]
	s_cbranch_execz .LBB49_6
; %bb.1:
	s_load_dwordx16 s[12:27], s[4:5], 0x58
	s_lshl_b64 s[2:3], s[8:9], 3
	v_cmp_lt_i64_e64 s[6:7], s[28:29], 1
	s_waitcnt lgkmcnt(0)
	s_add_u32 s0, s24, s2
	s_addc_u32 s1, s25, s3
	s_load_dwordx2 s[0:1], s[0:1], 0x0
	s_and_b64 vcc, exec, s[6:7]
	s_cbranch_vccnz .LBB49_4
; %bb.2:
	s_load_dwordx8 s[36:43], s[4:5], 0x28
	s_mul_i32 s7, s8, s21
	s_mul_hi_u32 s10, s8, s20
	s_mul_i32 s6, s8, s20
	v_mul_lo_u32 v8, v1, s18
	s_waitcnt lgkmcnt(0)
	s_add_u32 s2, s36, s2
	s_addc_u32 s3, s37, s3
	s_load_dwordx2 s[2:3], s[2:3], 0x0
	s_lshl_b64 s[8:9], s[38:39], 3
	v_mul_lo_u32 v6, v3, s40
	v_mul_lo_u32 v7, v2, s41
	;; [unrolled: 1-line block ×3, first 2 shown]
	s_waitcnt lgkmcnt(0)
	s_add_u32 s8, s2, s8
	s_addc_u32 s9, s3, s9
	s_add_i32 s7, s10, s7
	s_lshl_b64 s[2:3], s[6:7], 3
	s_add_u32 s6, s12, s2
	s_addc_u32 s7, s13, s3
	s_lshl_b64 s[2:3], s[14:15], 3
	s_add_u32 s6, s6, s2
	s_addc_u32 s7, s7, s3
	v_mad_u64_u32 v[4:5], s[2:3], v2, s40, 0
	v_add3_u32 v5, v5, v7, v6
	v_lshlrev_b64 v[4:5], 3, v[4:5]
	v_mov_b32_e32 v7, s9
	v_add_co_u32_e32 v6, vcc, s8, v4
	v_addc_co_u32_e32 v7, vcc, v7, v5, vcc
	v_mad_u64_u32 v[4:5], s[2:3], v0, s18, 0
	v_add3_u32 v5, v5, v9, v8
	v_lshlrev_b64 v[4:5], 3, v[4:5]
	v_mov_b32_e32 v9, s7
	v_add_co_u32_e32 v8, vcc, s6, v4
	s_lshl_b64 s[2:3], s[16:17], 3
	s_lshl_b64 s[6:7], s[42:43], 3
	v_addc_co_u32_e32 v9, vcc, v9, v5, vcc
	v_pk_mov_b32 v[4:5], 0, 0
	v_mov_b32_e32 v10, s3
	v_mov_b32_e32 v11, s7
.LBB49_3:                               ; =>This Inner Loop Header: Depth=1
	global_load_dwordx2 v[12:13], v[6:7], off
	global_load_dwordx2 v[14:15], v[8:9], off
	v_add_co_u32_e32 v8, vcc, s2, v8
	v_addc_co_u32_e32 v9, vcc, v9, v10, vcc
	s_add_u32 s28, s28, -1
	v_add_co_u32_e32 v6, vcc, s6, v6
	s_addc_u32 s29, s29, -1
	v_addc_co_u32_e32 v7, vcc, v7, v11, vcc
	s_cmp_eq_u64 s[28:29], 0
	s_waitcnt vmcnt(0)
	v_fmac_f64_e32 v[4:5], v[12:13], v[14:15]
	s_cbranch_scc0 .LBB49_3
	s_branch .LBB49_5
.LBB49_4:
	v_pk_mov_b32 v[4:5], 0, 0
.LBB49_5:
	s_load_dwordx4 s[4:7], s[4:5], 0x98
	s_lshl_b64 s[2:3], s[26:27], 3
	s_waitcnt lgkmcnt(0)
	s_add_u32 s2, s0, s2
	s_addc_u32 s3, s1, s3
	v_mul_lo_u32 v6, v3, s4
	v_mul_lo_u32 v7, v2, s5
	v_mad_u64_u32 v[2:3], s[0:1], v2, s4, 0
	v_add3_u32 v3, v3, v7, v6
	v_mul_lo_u32 v6, v1, s6
	v_mul_lo_u32 v7, v0, s7
	v_mad_u64_u32 v[0:1], s[0:1], v0, s6, 0
	v_lshlrev_b64 v[2:3], 3, v[2:3]
	v_add3_u32 v1, v1, v7, v6
	v_mov_b32_e32 v6, s3
	v_add_co_u32_e32 v2, vcc, s2, v2
	v_addc_co_u32_e32 v3, vcc, v6, v3, vcc
	v_lshlrev_b64 v[0:1], 3, v[0:1]
	v_add_co_u32_e32 v0, vcc, v2, v0
	v_addc_co_u32_e32 v1, vcc, v3, v1, vcc
	global_load_dwordx2 v[2:3], v[0:1], off
	s_waitcnt vmcnt(0)
	v_mul_f64 v[2:3], v[2:3], s[22:23]
	v_fmac_f64_e32 v[2:3], s[30:31], v[4:5]
	global_store_dwordx2 v[0:1], v[2:3], off
.LBB49_6:
	s_endpgm
	.section	.rodata,"a",@progbits
	.p2align	6, 0x0
	.amdhsa_kernel _ZN9rocsolver6v33100L11gemm_kernelIdldPKPdS2_S4_EEvT0_S5_S5_T1_bT2_lS5_S5_lbT3_lS5_S5_lS6_T4_lS5_S5_l
		.amdhsa_group_segment_fixed_size 0
		.amdhsa_private_segment_fixed_size 0
		.amdhsa_kernarg_size 432
		.amdhsa_user_sgpr_count 6
		.amdhsa_user_sgpr_private_segment_buffer 1
		.amdhsa_user_sgpr_dispatch_ptr 0
		.amdhsa_user_sgpr_queue_ptr 0
		.amdhsa_user_sgpr_kernarg_segment_ptr 1
		.amdhsa_user_sgpr_dispatch_id 0
		.amdhsa_user_sgpr_flat_scratch_init 0
		.amdhsa_user_sgpr_kernarg_preload_length 0
		.amdhsa_user_sgpr_kernarg_preload_offset 0
		.amdhsa_user_sgpr_private_segment_size 0
		.amdhsa_uses_dynamic_stack 0
		.amdhsa_system_sgpr_private_segment_wavefront_offset 0
		.amdhsa_system_sgpr_workgroup_id_x 1
		.amdhsa_system_sgpr_workgroup_id_y 1
		.amdhsa_system_sgpr_workgroup_id_z 1
		.amdhsa_system_sgpr_workgroup_info 0
		.amdhsa_system_vgpr_workitem_id 1
		.amdhsa_next_free_vgpr 16
		.amdhsa_next_free_sgpr 44
		.amdhsa_accum_offset 16
		.amdhsa_reserve_vcc 1
		.amdhsa_reserve_flat_scratch 0
		.amdhsa_float_round_mode_32 0
		.amdhsa_float_round_mode_16_64 0
		.amdhsa_float_denorm_mode_32 3
		.amdhsa_float_denorm_mode_16_64 3
		.amdhsa_dx10_clamp 1
		.amdhsa_ieee_mode 1
		.amdhsa_fp16_overflow 0
		.amdhsa_tg_split 0
		.amdhsa_exception_fp_ieee_invalid_op 0
		.amdhsa_exception_fp_denorm_src 0
		.amdhsa_exception_fp_ieee_div_zero 0
		.amdhsa_exception_fp_ieee_overflow 0
		.amdhsa_exception_fp_ieee_underflow 0
		.amdhsa_exception_fp_ieee_inexact 0
		.amdhsa_exception_int_div_zero 0
	.end_amdhsa_kernel
	.section	.text._ZN9rocsolver6v33100L11gemm_kernelIdldPKPdS2_S4_EEvT0_S5_S5_T1_bT2_lS5_S5_lbT3_lS5_S5_lS6_T4_lS5_S5_l,"axG",@progbits,_ZN9rocsolver6v33100L11gemm_kernelIdldPKPdS2_S4_EEvT0_S5_S5_T1_bT2_lS5_S5_lbT3_lS5_S5_lS6_T4_lS5_S5_l,comdat
.Lfunc_end49:
	.size	_ZN9rocsolver6v33100L11gemm_kernelIdldPKPdS2_S4_EEvT0_S5_S5_T1_bT2_lS5_S5_lbT3_lS5_S5_lS6_T4_lS5_S5_l, .Lfunc_end49-_ZN9rocsolver6v33100L11gemm_kernelIdldPKPdS2_S4_EEvT0_S5_S5_T1_bT2_lS5_S5_lbT3_lS5_S5_lS6_T4_lS5_S5_l
                                        ; -- End function
	.section	.AMDGPU.csdata,"",@progbits
; Kernel info:
; codeLenInByte = 592
; NumSgprs: 48
; NumVgprs: 16
; NumAgprs: 0
; TotalNumVgprs: 16
; ScratchSize: 0
; MemoryBound: 0
; FloatMode: 240
; IeeeMode: 1
; LDSByteSize: 0 bytes/workgroup (compile time only)
; SGPRBlocks: 5
; VGPRBlocks: 1
; NumSGPRsForWavesPerEU: 48
; NumVGPRsForWavesPerEU: 16
; AccumOffset: 16
; Occupancy: 8
; WaveLimiterHint : 1
; COMPUTE_PGM_RSRC2:SCRATCH_EN: 0
; COMPUTE_PGM_RSRC2:USER_SGPR: 6
; COMPUTE_PGM_RSRC2:TRAP_HANDLER: 0
; COMPUTE_PGM_RSRC2:TGID_X_EN: 1
; COMPUTE_PGM_RSRC2:TGID_Y_EN: 1
; COMPUTE_PGM_RSRC2:TGID_Z_EN: 1
; COMPUTE_PGM_RSRC2:TIDIG_COMP_CNT: 1
; COMPUTE_PGM_RSRC3_GFX90A:ACCUM_OFFSET: 3
; COMPUTE_PGM_RSRC3_GFX90A:TG_SPLIT: 0
	.section	.text._ZN9rocsolver6v33100L16mfma_gemm_kernelIdlPKdPKPdS6_S4_EEv18rocblas_operation_S7_T0_S8_S8_T1_T2_lS8_S8_lT3_lS8_S8_lS9_T4_lS8_S8_l,"axG",@progbits,_ZN9rocsolver6v33100L16mfma_gemm_kernelIdlPKdPKPdS6_S4_EEv18rocblas_operation_S7_T0_S8_S8_T1_T2_lS8_S8_lT3_lS8_S8_lS9_T4_lS8_S8_l,comdat
	.globl	_ZN9rocsolver6v33100L16mfma_gemm_kernelIdlPKdPKPdS6_S4_EEv18rocblas_operation_S7_T0_S8_S8_T1_T2_lS8_S8_lT3_lS8_S8_lS9_T4_lS8_S8_l ; -- Begin function _ZN9rocsolver6v33100L16mfma_gemm_kernelIdlPKdPKPdS6_S4_EEv18rocblas_operation_S7_T0_S8_S8_T1_T2_lS8_S8_lT3_lS8_S8_lS9_T4_lS8_S8_l
	.p2align	8
	.type	_ZN9rocsolver6v33100L16mfma_gemm_kernelIdlPKdPKPdS6_S4_EEv18rocblas_operation_S7_T0_S8_S8_T1_T2_lS8_S8_lT3_lS8_S8_lS9_T4_lS8_S8_l,@function
_ZN9rocsolver6v33100L16mfma_gemm_kernelIdlPKdPKPdS6_S4_EEv18rocblas_operation_S7_T0_S8_S8_T1_T2_lS8_S8_lT3_lS8_S8_lS9_T4_lS8_S8_l: ; @_ZN9rocsolver6v33100L16mfma_gemm_kernelIdlPKdPKPdS6_S4_EEv18rocblas_operation_S7_T0_S8_S8_T1_T2_lS8_S8_lT3_lS8_S8_lS9_T4_lS8_S8_l
; %bb.0:
	s_load_dword s0, s[4:5], 0xb4
	s_load_dwordx16 s[12:27], s[4:5], 0x8
	v_and_b32_e32 v1, 0x3ff, v0
	v_lshrrev_b32_e32 v8, 6, v1
	v_mov_b32_e32 v9, 0
	s_waitcnt lgkmcnt(0)
	s_lshr_b32 s2, s0, 16
	s_bfe_u32 s0, s0, 0xa0006
	v_bfe_u32 v2, v0, 10, 10
	v_mov_b32_e32 v0, s6
	v_mov_b32_e32 v3, v9
	v_mad_u64_u32 v[22:23], s[0:1], s0, v0, v[8:9]
	v_mov_b32_e32 v0, s7
	v_mad_u64_u32 v[26:27], s[0:1], s2, v0, v[2:3]
	v_lshlrev_b64 v[12:13], 4, v[22:23]
	v_lshlrev_b64 v[14:15], 4, v[26:27]
	v_cmp_gt_i64_e32 vcc, s[12:13], v[12:13]
	v_cmp_gt_i64_e64 s[0:1], s[14:15], v[14:15]
	s_and_b64 s[0:1], vcc, s[0:1]
	s_and_saveexec_b64 s[2:3], s[0:1]
	s_cbranch_execz .LBB50_36
; %bb.1:
	s_load_dwordx8 s[36:43], s[4:5], 0x78
	s_load_dwordx4 s[28:31], s[4:5], 0x98
	v_add_co_u32_e32 v2, vcc, 16, v12
	v_addc_co_u32_e32 v3, vcc, 0, v13, vcc
	s_and_b32 s0, s12, 15
	v_mov_b32_e32 v0, s0
	v_cmp_lt_u64_e32 vcc, s[12:13], v[2:3]
	v_cndmask_b32_e32 v8, 16, v0, vcc
	v_add_co_u32_e32 v2, vcc, 16, v14
	s_load_dwordx2 s[10:11], s[18:19], 0x0
	s_waitcnt lgkmcnt(0)
	s_load_dwordx2 s[12:13], s[36:37], 0x0
	v_addc_co_u32_e32 v3, vcc, 0, v15, vcc
	s_and_b32 s0, s14, 15
	v_mov_b32_e32 v0, s0
	v_cmp_lt_u64_e32 vcc, s[14:15], v[2:3]
	v_cndmask_b32_e32 v16, 16, v0, vcc
	v_mov_b32_e32 v17, v9
	v_bfe_u32 v18, v1, 2, 4
	v_mov_b32_e32 v19, v9
	v_cmp_lt_i64_e64 s[0:1], s[16:17], 1
	v_pk_mov_b32 v[6:7], 0, 0
	s_mov_b32 s9, 0
	v_and_b32_e32 v21, 63, v1
	v_and_b32_e32 v10, 3, v1
	v_mov_b32_e32 v11, v9
	s_and_b64 vcc, exec, s[0:1]
	v_cmp_lt_u64_e64 s[0:1], v[18:19], v[16:17]
	v_mbcnt_lo_u32_b32 v34, -1, 0
	v_pk_mov_b32 v[4:5], v[6:7], v[6:7] op_sel:[0,1]
	v_pk_mov_b32 v[2:3], v[6:7], v[6:7] op_sel:[0,1]
	;; [unrolled: 1-line block ×3, first 2 shown]
	s_cbranch_vccnz .LBB50_28
; %bb.2:
	s_load_dwordx2 s[2:3], s[4:5], 0x0
	s_load_dwordx8 s[44:51], s[4:5], 0x50
	v_mov_b32_e32 v1, 0
	v_and_b32_e32 v0, 15, v21
	v_lshrrev_b32_e32 v20, 4, v21
	s_waitcnt lgkmcnt(0)
	s_cmpk_lg_i32 s2, 0x6f
	s_cselect_b64 s[14:15], -1, 0
	s_cmpk_lg_i32 s3, 0x6f
	s_cselect_b64 s[18:19], -1, 0
	s_lshl_b64 s[4:5], s[8:9], 3
	s_add_u32 s6, s44, s4
	s_addc_u32 s7, s45, s5
	s_cmpk_eq_i32 s3, 0x6f
	s_cselect_b32 s9, s50, s48
	s_cselect_b32 s33, s51, s49
	s_add_u32 s4, s20, s4
	s_addc_u32 s5, s21, s5
	s_cmpk_eq_i32 s2, 0x6f
	s_cselect_b32 s36, s24, s26
	s_cselect_b32 s37, s25, s27
	s_load_dwordx2 s[34:35], s[6:7], 0x0
	s_load_dwordx2 s[20:21], s[4:5], 0x0
	v_cmp_lt_u64_e64 s[4:5], v[0:1], v[8:9]
	v_cmp_lt_u64_e64 s[6:7], v[0:1], v[16:17]
	v_mul_lo_u32 v1, s37, v22
	v_mul_lo_u32 v4, s36, v23
	v_mad_u64_u32 v[2:3], s[36:37], s36, v22, 0
	v_add3_u32 v3, v3, v4, v1
	v_mad_u64_u32 v[4:5], s[36:37], s26, v20, 0
	v_mov_b32_e32 v6, v5
	v_mad_u64_u32 v[6:7], s[36:37], s27, v20, v[6:7]
	v_mov_b32_e32 v5, v6
	v_lshlrev_b64 v[2:3], 7, v[2:3]
	v_lshlrev_b64 v[4:5], 3, v[4:5]
	v_add_co_u32_e32 v1, vcc, v2, v4
	v_addc_co_u32_e32 v22, vcc, v3, v5, vcc
	v_mad_u64_u32 v[4:5], s[36:37], s24, v0, 0
	v_mov_b32_e32 v6, v5
	v_mad_u64_u32 v[6:7], s[36:37], s25, v0, v[6:7]
	v_mov_b32_e32 v5, v6
	v_lshlrev_b64 v[4:5], 3, v[4:5]
	s_lshl_b64 s[22:23], s[22:23], 3
	v_add_co_u32_e32 v1, vcc, v1, v4
	s_waitcnt lgkmcnt(0)
	s_add_u32 s36, s20, s22
	v_addc_co_u32_e32 v4, vcc, v22, v5, vcc
	s_addc_u32 s37, s21, s23
	v_mov_b32_e32 v5, s37
	v_add_co_u32_e32 v22, vcc, s36, v1
	v_addc_co_u32_e32 v23, vcc, v5, v4, vcc
	v_mad_u64_u32 v[4:5], s[22:23], s26, v18, 0
	v_mov_b32_e32 v6, v5
	v_mad_u64_u32 v[6:7], s[22:23], s27, v18, v[6:7]
	v_mov_b32_e32 v5, v6
	v_lshlrev_b64 v[4:5], 3, v[4:5]
	v_add_co_u32_e32 v1, vcc, v2, v4
	v_addc_co_u32_e32 v6, vcc, v3, v5, vcc
	v_mad_u64_u32 v[2:3], s[22:23], s24, v10, 0
	v_mov_b32_e32 v4, v3
	v_mad_u64_u32 v[4:5], s[22:23], s25, v10, v[4:5]
	v_mov_b32_e32 v3, v4
	v_lshlrev_b64 v[2:3], 3, v[2:3]
	v_add_co_u32_e32 v1, vcc, v1, v2
	v_addc_co_u32_e32 v2, vcc, v6, v3, vcc
	v_mov_b32_e32 v3, s37
	v_add_co_u32_e32 v24, vcc, s36, v1
	v_addc_co_u32_e32 v25, vcc, v3, v2, vcc
	s_lshl_b64 s[22:23], s[24:25], 5
	v_mul_lo_u32 v1, s33, v26
	v_mul_lo_u32 v4, s9, v27
	v_mad_u64_u32 v[2:3], s[24:25], s9, v26, 0
	v_add3_u32 v3, v3, v4, v1
	v_mad_u64_u32 v[4:5], s[24:25], s50, v18, 0
	v_mov_b32_e32 v6, v5
	v_mad_u64_u32 v[6:7], s[24:25], s51, v18, v[6:7]
	v_mov_b32_e32 v5, v6
	v_lshlrev_b64 v[2:3], 7, v[2:3]
	v_lshlrev_b64 v[4:5], 3, v[4:5]
	v_add_co_u32_e32 v1, vcc, v2, v4
	v_addc_co_u32_e32 v26, vcc, v3, v5, vcc
	v_mad_u64_u32 v[4:5], s[24:25], s48, v10, 0
	v_mov_b32_e32 v6, v5
	v_mad_u64_u32 v[6:7], s[24:25], s49, v10, v[6:7]
	v_mov_b32_e32 v5, v6
	s_lshl_b64 s[20:21], s[26:27], 5
	v_lshlrev_b64 v[4:5], 3, v[4:5]
	s_lshl_b64 s[24:25], s[46:47], 3
	v_add_co_u32_e32 v1, vcc, v1, v4
	s_add_u32 s9, s34, s24
	v_addc_co_u32_e32 v4, vcc, v26, v5, vcc
	s_addc_u32 s33, s35, s25
	v_mov_b32_e32 v5, s33
	v_add_co_u32_e32 v26, vcc, s9, v1
	v_addc_co_u32_e32 v27, vcc, v5, v4, vcc
	v_mad_u64_u32 v[4:5], s[26:27], s50, v20, 0
	v_mov_b32_e32 v6, v5
	v_mad_u64_u32 v[6:7], s[26:27], s51, v20, v[6:7]
	v_mov_b32_e32 v5, v6
	v_lshlrev_b64 v[4:5], 3, v[4:5]
	v_add_co_u32_e32 v6, vcc, v2, v4
	v_addc_co_u32_e32 v5, vcc, v3, v5, vcc
	v_mad_u64_u32 v[2:3], s[26:27], s48, v0, 0
	v_mov_b32_e32 v4, v3
	v_lshl_or_b32 v30, v0, 2, v20
	v_mad_u64_u32 v[0:1], s[26:27], s49, v0, v[4:5]
	v_mov_b32_e32 v3, v0
	v_lshlrev_b64 v[0:1], 3, v[2:3]
	v_add_co_u32_e32 v0, vcc, v6, v0
	v_addc_co_u32_e32 v1, vcc, v5, v1, vcc
	v_mov_b32_e32 v2, s33
	v_add_co_u32_e32 v28, vcc, s9, v0
	v_addc_co_u32_e32 v29, vcc, v2, v1, vcc
	v_mbcnt_hi_u32_b32 v2, -1, v34
	v_pk_mov_b32 v[0:1], 0, 0
	v_and_or_b32 v2, v2, 64, v30
	v_cmp_lt_u64_e64 s[2:3], v[18:19], v[8:9]
	s_lshl_b64 s[24:25], s[48:49], 5
	s_lshl_b64 s[26:27], s[50:51], 5
	s_mov_b64 s[34:35], 0
	v_lshlrev_b32_e32 v35, 2, v2
	v_pk_mov_b32 v[2:3], v[0:1], v[0:1] op_sel:[0,1]
	v_pk_mov_b32 v[4:5], v[0:1], v[0:1] op_sel:[0,1]
	;; [unrolled: 1-line block ×3, first 2 shown]
	s_branch .LBB50_6
.LBB50_3:                               ;   in Loop: Header=BB50_6 Depth=1
	s_or_b64 exec, exec, s[44:45]
.LBB50_4:                               ;   in Loop: Header=BB50_6 Depth=1
	s_or_b64 exec, exec, s[36:37]
	s_waitcnt vmcnt(0)
	ds_bpermute_b32 v32, v35, v32
	ds_bpermute_b32 v33, v35, v33
.LBB50_5:                               ;   in Loop: Header=BB50_6 Depth=1
	v_mov_b32_e32 v36, s21
	v_add_co_u32_e32 v22, vcc, s20, v22
	v_addc_co_u32_e32 v23, vcc, v23, v36, vcc
	v_mov_b32_e32 v36, s23
	v_add_co_u32_e32 v24, vcc, s22, v24
	s_waitcnt vmcnt(0) lgkmcnt(0)
	v_mfma_f64_16x16x4f64 v[0:7], v[30:31], v[32:33], v[0:7]
	s_add_u32 s34, s34, 4
	s_addc_u32 s35, s35, 0
	v_addc_co_u32_e32 v25, vcc, v25, v36, vcc
	v_mov_b32_e32 v36, s25
	v_add_co_u32_e32 v26, vcc, s24, v26
	v_addc_co_u32_e32 v27, vcc, v27, v36, vcc
	v_mov_b32_e32 v30, s27
	v_add_co_u32_e32 v28, vcc, s26, v28
	v_addc_co_u32_e32 v29, vcc, v29, v30, vcc
	v_pk_mov_b32 v[30:31], s[16:17], s[16:17] op_sel:[0,1]
	v_cmp_ge_i64_e32 vcc, s[34:35], v[30:31]
	s_cbranch_vccnz .LBB50_28
.LBB50_6:                               ; =>This Inner Loop Header: Depth=1
	s_and_b64 vcc, exec, s[14:15]
	s_cbranch_vccz .LBB50_18
; %bb.7:                                ;   in Loop: Header=BB50_6 Depth=1
	v_pk_mov_b32 v[30:31], 0, 0
	s_and_saveexec_b64 s[36:37], s[2:3]
	s_cbranch_execz .LBB50_11
; %bb.8:                                ;   in Loop: Header=BB50_6 Depth=1
	v_mov_b32_e32 v31, s35
	v_add_co_u32_e32 v30, vcc, s34, v10
	v_addc_co_u32_e32 v31, vcc, 0, v31, vcc
	v_cmp_gt_i64_e32 vcc, s[16:17], v[30:31]
	v_pk_mov_b32 v[30:31], 0, 0
	s_and_saveexec_b64 s[44:45], vcc
	s_cbranch_execz .LBB50_10
; %bb.9:                                ;   in Loop: Header=BB50_6 Depth=1
	global_load_dwordx2 v[30:31], v[24:25], off
.LBB50_10:                              ;   in Loop: Header=BB50_6 Depth=1
	s_or_b64 exec, exec, s[44:45]
.LBB50_11:                              ;   in Loop: Header=BB50_6 Depth=1
	s_or_b64 exec, exec, s[36:37]
	s_waitcnt vmcnt(0)
	ds_bpermute_b32 v30, v35, v30
	ds_bpermute_b32 v31, v35, v31
.LBB50_12:                              ;   in Loop: Header=BB50_6 Depth=1
	s_and_b64 vcc, exec, s[18:19]
	s_cbranch_vccz .LBB50_24
.LBB50_13:                              ;   in Loop: Header=BB50_6 Depth=1
	v_pk_mov_b32 v[32:33], 0, 0
	s_and_saveexec_b64 s[36:37], s[6:7]
	s_cbranch_execz .LBB50_17
; %bb.14:                               ;   in Loop: Header=BB50_6 Depth=1
	v_mov_b32_e32 v33, s35
	v_add_co_u32_e32 v32, vcc, s34, v20
	v_addc_co_u32_e32 v33, vcc, 0, v33, vcc
	v_cmp_gt_i64_e32 vcc, s[16:17], v[32:33]
	v_pk_mov_b32 v[32:33], 0, 0
	s_and_saveexec_b64 s[44:45], vcc
	s_cbranch_execz .LBB50_16
; %bb.15:                               ;   in Loop: Header=BB50_6 Depth=1
	global_load_dwordx2 v[32:33], v[28:29], off
.LBB50_16:                              ;   in Loop: Header=BB50_6 Depth=1
	s_or_b64 exec, exec, s[44:45]
.LBB50_17:                              ;   in Loop: Header=BB50_6 Depth=1
	s_or_b64 exec, exec, s[36:37]
	s_cbranch_execnz .LBB50_5
	s_branch .LBB50_25
.LBB50_18:                              ;   in Loop: Header=BB50_6 Depth=1
                                        ; implicit-def: $vgpr30_vgpr31
	s_cbranch_execz .LBB50_12
; %bb.19:                               ;   in Loop: Header=BB50_6 Depth=1
	s_waitcnt lgkmcnt(0)
	v_pk_mov_b32 v[30:31], 0, 0
	s_and_saveexec_b64 s[36:37], s[4:5]
	s_cbranch_execz .LBB50_23
; %bb.20:                               ;   in Loop: Header=BB50_6 Depth=1
	v_mov_b32_e32 v31, s35
	v_add_co_u32_e32 v30, vcc, s34, v20
	v_addc_co_u32_e32 v31, vcc, 0, v31, vcc
	v_cmp_gt_i64_e32 vcc, s[16:17], v[30:31]
	v_pk_mov_b32 v[30:31], 0, 0
	s_and_saveexec_b64 s[44:45], vcc
	s_cbranch_execz .LBB50_22
; %bb.21:                               ;   in Loop: Header=BB50_6 Depth=1
	global_load_dwordx2 v[30:31], v[22:23], off
.LBB50_22:                              ;   in Loop: Header=BB50_6 Depth=1
	s_or_b64 exec, exec, s[44:45]
.LBB50_23:                              ;   in Loop: Header=BB50_6 Depth=1
	s_or_b64 exec, exec, s[36:37]
	s_and_b64 vcc, exec, s[18:19]
	s_cbranch_vccnz .LBB50_13
.LBB50_24:                              ;   in Loop: Header=BB50_6 Depth=1
                                        ; implicit-def: $vgpr32_vgpr33
.LBB50_25:                              ;   in Loop: Header=BB50_6 Depth=1
	s_waitcnt vmcnt(0)
	v_pk_mov_b32 v[32:33], 0, 0
	s_and_saveexec_b64 s[36:37], s[0:1]
	s_cbranch_execz .LBB50_4
; %bb.26:                               ;   in Loop: Header=BB50_6 Depth=1
	v_mov_b32_e32 v33, s35
	v_add_co_u32_e32 v32, vcc, s34, v10
	v_addc_co_u32_e32 v33, vcc, 0, v33, vcc
	v_cmp_gt_i64_e32 vcc, s[16:17], v[32:33]
	v_pk_mov_b32 v[32:33], 0, 0
	s_and_saveexec_b64 s[44:45], vcc
	s_cbranch_execz .LBB50_3
; %bb.27:                               ;   in Loop: Header=BB50_6 Depth=1
	global_load_dwordx2 v[32:33], v[26:27], off
	s_branch .LBB50_3
.LBB50_28:
	s_mul_i32 s0, s8, s31
	s_mul_hi_u32 s1, s8, s30
	s_add_i32 s1, s1, s0
	s_mul_i32 s0, s8, s30
	s_lshl_b64 s[0:1], s[0:1], 3
	s_add_u32 s2, s38, s0
	s_addc_u32 s3, s39, s1
	s_lshl_b64 s[0:1], s[40:41], 3
	s_add_u32 s2, s2, s0
	s_addc_u32 s3, s3, s1
	v_mul_lo_u32 v20, v15, s28
	v_mul_lo_u32 v22, v14, s29
	v_mad_u64_u32 v[14:15], s[0:1], v14, s28, 0
	v_add3_u32 v15, v15, v22, v20
	v_mul_lo_u32 v20, v13, s42
	v_mul_lo_u32 v22, v12, s43
	v_mad_u64_u32 v[12:13], s[0:1], v12, s42, 0
	v_lshlrev_b64 v[14:15], 3, v[14:15]
	v_add3_u32 v13, v13, v22, v20
	v_mov_b32_e32 v20, s3
	v_add_co_u32_e32 v14, vcc, s2, v14
	v_addc_co_u32_e32 v15, vcc, v20, v15, vcc
	v_lshlrev_b64 v[12:13], 3, v[12:13]
	v_add_co_u32_e32 v20, vcc, v14, v12
	v_lshl_or_b32 v12, v21, 4, v18
	v_addc_co_u32_e32 v15, vcc, v15, v13, vcc
	v_mbcnt_hi_u32_b32 v13, -1, v34
	v_and_b32_e32 v12, 63, v12
	v_and_or_b32 v12, v13, 64, v12
	v_lshlrev_b32_e32 v14, 2, v12
	v_mad_u64_u32 v[12:13], s[0:1], v18, s28, 0
	v_cmp_lt_u64_e32 vcc, v[18:19], v[16:17]
	v_mov_b32_e32 v16, v13
	v_mad_u64_u32 v[16:17], s[0:1], v18, s29, v[16:17]
	v_mov_b32_e32 v13, v16
	v_lshlrev_b64 v[12:13], 3, v[12:13]
	ds_bpermute_b32 v0, v14, v0
	ds_bpermute_b32 v1, v14, v1
	v_add_co_u32_e64 v12, s[0:1], v20, v12
	v_addc_co_u32_e64 v13, s[0:1], v15, v13, s[0:1]
	v_cmp_lt_u64_e64 s[0:1], v[10:11], v[8:9]
	s_and_b64 s[0:1], vcc, s[0:1]
	s_and_saveexec_b64 s[2:3], s[0:1]
	s_cbranch_execz .LBB50_30
; %bb.29:
	v_mad_u64_u32 v[16:17], s[0:1], v10, s42, 0
	v_mov_b32_e32 v18, v17
	v_mad_u64_u32 v[18:19], s[0:1], v10, s43, v[18:19]
	v_mov_b32_e32 v17, v18
	v_lshlrev_b64 v[16:17], 3, v[16:17]
	v_add_co_u32_e64 v16, s[0:1], v12, v16
	v_addc_co_u32_e64 v17, s[0:1], v13, v17, s[0:1]
	global_load_dwordx2 v[18:19], v[16:17], off
	s_waitcnt vmcnt(0) lgkmcnt(0)
	v_mul_f64 v[18:19], s[12:13], v[18:19]
	v_fmac_f64_e32 v[18:19], s[10:11], v[0:1]
	global_store_dwordx2 v[16:17], v[18:19], off
.LBB50_30:
	s_or_b64 exec, exec, s[2:3]
	s_waitcnt lgkmcnt(0)
	ds_bpermute_b32 v0, v14, v2
	ds_bpermute_b32 v1, v14, v3
	v_or_b32_e32 v2, 4, v10
	v_mov_b32_e32 v3, v11
	v_cmp_lt_u64_e64 s[0:1], v[2:3], v[8:9]
	s_and_b64 s[0:1], vcc, s[0:1]
	s_and_saveexec_b64 s[2:3], s[0:1]
	s_cbranch_execz .LBB50_32
; %bb.31:
	v_mad_u64_u32 v[16:17], s[0:1], v2, s42, 0
	v_mov_b32_e32 v18, v17
	v_mad_u64_u32 v[2:3], s[0:1], v2, s43, v[18:19]
	v_mov_b32_e32 v17, v2
	v_lshlrev_b64 v[2:3], 3, v[16:17]
	v_add_co_u32_e64 v2, s[0:1], v12, v2
	v_addc_co_u32_e64 v3, s[0:1], v13, v3, s[0:1]
	global_load_dwordx2 v[16:17], v[2:3], off
	s_waitcnt vmcnt(0)
	v_mul_f64 v[16:17], s[12:13], v[16:17]
	s_waitcnt lgkmcnt(0)
	v_fmac_f64_e32 v[16:17], s[10:11], v[0:1]
	global_store_dwordx2 v[2:3], v[16:17], off
.LBB50_32:
	s_or_b64 exec, exec, s[2:3]
	s_waitcnt lgkmcnt(1)
	ds_bpermute_b32 v0, v14, v4
	s_waitcnt lgkmcnt(1)
	ds_bpermute_b32 v1, v14, v5
	v_or_b32_e32 v2, 8, v10
	v_mov_b32_e32 v3, v11
	v_cmp_lt_u64_e64 s[0:1], v[2:3], v[8:9]
	s_and_b64 s[0:1], vcc, s[0:1]
	s_and_saveexec_b64 s[2:3], s[0:1]
	s_cbranch_execz .LBB50_34
; %bb.33:
	v_mad_u64_u32 v[4:5], s[0:1], v2, s42, 0
	v_mov_b32_e32 v16, v5
	v_mad_u64_u32 v[2:3], s[0:1], v2, s43, v[16:17]
	v_mov_b32_e32 v5, v2
	v_lshlrev_b64 v[2:3], 3, v[4:5]
	v_add_co_u32_e64 v2, s[0:1], v12, v2
	v_addc_co_u32_e64 v3, s[0:1], v13, v3, s[0:1]
	global_load_dwordx2 v[4:5], v[2:3], off
	s_waitcnt vmcnt(0)
	v_mul_f64 v[4:5], s[12:13], v[4:5]
	s_waitcnt lgkmcnt(0)
	v_fmac_f64_e32 v[4:5], s[10:11], v[0:1]
	global_store_dwordx2 v[2:3], v[4:5], off
.LBB50_34:
	s_or_b64 exec, exec, s[2:3]
	s_waitcnt lgkmcnt(1)
	ds_bpermute_b32 v0, v14, v6
	s_waitcnt lgkmcnt(1)
	ds_bpermute_b32 v1, v14, v7
	v_or_b32_e32 v10, 12, v10
	v_cmp_lt_u64_e64 s[0:1], v[10:11], v[8:9]
	s_and_b64 s[0:1], vcc, s[0:1]
	s_and_b64 exec, exec, s[0:1]
	s_cbranch_execz .LBB50_36
; %bb.35:
	v_mad_u64_u32 v[2:3], s[0:1], v10, s42, 0
	v_mov_b32_e32 v4, v3
	v_mad_u64_u32 v[4:5], s[0:1], v10, s43, v[4:5]
	v_mov_b32_e32 v3, v4
	v_lshlrev_b64 v[2:3], 3, v[2:3]
	v_add_co_u32_e32 v2, vcc, v12, v2
	v_addc_co_u32_e32 v3, vcc, v13, v3, vcc
	global_load_dwordx2 v[4:5], v[2:3], off
	s_waitcnt vmcnt(0)
	v_mul_f64 v[4:5], s[12:13], v[4:5]
	s_waitcnt lgkmcnt(0)
	v_fmac_f64_e32 v[4:5], s[10:11], v[0:1]
	global_store_dwordx2 v[2:3], v[4:5], off
.LBB50_36:
	s_endpgm
	.section	.rodata,"a",@progbits
	.p2align	6, 0x0
	.amdhsa_kernel _ZN9rocsolver6v33100L16mfma_gemm_kernelIdlPKdPKPdS6_S4_EEv18rocblas_operation_S7_T0_S8_S8_T1_T2_lS8_S8_lT3_lS8_S8_lS9_T4_lS8_S8_l
		.amdhsa_group_segment_fixed_size 0
		.amdhsa_private_segment_fixed_size 0
		.amdhsa_kernarg_size 424
		.amdhsa_user_sgpr_count 6
		.amdhsa_user_sgpr_private_segment_buffer 1
		.amdhsa_user_sgpr_dispatch_ptr 0
		.amdhsa_user_sgpr_queue_ptr 0
		.amdhsa_user_sgpr_kernarg_segment_ptr 1
		.amdhsa_user_sgpr_dispatch_id 0
		.amdhsa_user_sgpr_flat_scratch_init 0
		.amdhsa_user_sgpr_kernarg_preload_length 0
		.amdhsa_user_sgpr_kernarg_preload_offset 0
		.amdhsa_user_sgpr_private_segment_size 0
		.amdhsa_uses_dynamic_stack 0
		.amdhsa_system_sgpr_private_segment_wavefront_offset 0
		.amdhsa_system_sgpr_workgroup_id_x 1
		.amdhsa_system_sgpr_workgroup_id_y 1
		.amdhsa_system_sgpr_workgroup_id_z 1
		.amdhsa_system_sgpr_workgroup_info 0
		.amdhsa_system_vgpr_workitem_id 1
		.amdhsa_next_free_vgpr 37
		.amdhsa_next_free_sgpr 52
		.amdhsa_accum_offset 40
		.amdhsa_reserve_vcc 1
		.amdhsa_reserve_flat_scratch 0
		.amdhsa_float_round_mode_32 0
		.amdhsa_float_round_mode_16_64 0
		.amdhsa_float_denorm_mode_32 3
		.amdhsa_float_denorm_mode_16_64 3
		.amdhsa_dx10_clamp 1
		.amdhsa_ieee_mode 1
		.amdhsa_fp16_overflow 0
		.amdhsa_tg_split 0
		.amdhsa_exception_fp_ieee_invalid_op 0
		.amdhsa_exception_fp_denorm_src 0
		.amdhsa_exception_fp_ieee_div_zero 0
		.amdhsa_exception_fp_ieee_overflow 0
		.amdhsa_exception_fp_ieee_underflow 0
		.amdhsa_exception_fp_ieee_inexact 0
		.amdhsa_exception_int_div_zero 0
	.end_amdhsa_kernel
	.section	.text._ZN9rocsolver6v33100L16mfma_gemm_kernelIdlPKdPKPdS6_S4_EEv18rocblas_operation_S7_T0_S8_S8_T1_T2_lS8_S8_lT3_lS8_S8_lS9_T4_lS8_S8_l,"axG",@progbits,_ZN9rocsolver6v33100L16mfma_gemm_kernelIdlPKdPKPdS6_S4_EEv18rocblas_operation_S7_T0_S8_S8_T1_T2_lS8_S8_lT3_lS8_S8_lS9_T4_lS8_S8_l,comdat
.Lfunc_end50:
	.size	_ZN9rocsolver6v33100L16mfma_gemm_kernelIdlPKdPKPdS6_S4_EEv18rocblas_operation_S7_T0_S8_S8_T1_T2_lS8_S8_lT3_lS8_S8_lS9_T4_lS8_S8_l, .Lfunc_end50-_ZN9rocsolver6v33100L16mfma_gemm_kernelIdlPKdPKPdS6_S4_EEv18rocblas_operation_S7_T0_S8_S8_T1_T2_lS8_S8_lT3_lS8_S8_lS9_T4_lS8_S8_l
                                        ; -- End function
	.section	.AMDGPU.csdata,"",@progbits
; Kernel info:
; codeLenInByte = 2172
; NumSgprs: 56
; NumVgprs: 37
; NumAgprs: 0
; TotalNumVgprs: 37
; ScratchSize: 0
; MemoryBound: 0
; FloatMode: 240
; IeeeMode: 1
; LDSByteSize: 0 bytes/workgroup (compile time only)
; SGPRBlocks: 6
; VGPRBlocks: 4
; NumSGPRsForWavesPerEU: 56
; NumVGPRsForWavesPerEU: 37
; AccumOffset: 40
; Occupancy: 8
; WaveLimiterHint : 1
; COMPUTE_PGM_RSRC2:SCRATCH_EN: 0
; COMPUTE_PGM_RSRC2:USER_SGPR: 6
; COMPUTE_PGM_RSRC2:TRAP_HANDLER: 0
; COMPUTE_PGM_RSRC2:TGID_X_EN: 1
; COMPUTE_PGM_RSRC2:TGID_Y_EN: 1
; COMPUTE_PGM_RSRC2:TGID_Z_EN: 1
; COMPUTE_PGM_RSRC2:TIDIG_COMP_CNT: 1
; COMPUTE_PGM_RSRC3_GFX90A:ACCUM_OFFSET: 9
; COMPUTE_PGM_RSRC3_GFX90A:TG_SPLIT: 0
	.section	.text._ZN9rocsolver6v33100L16mfma_gemm_kernelIdldPKPdS4_S2_EEv18rocblas_operation_S5_T0_S6_S6_T1_T2_lS6_S6_lT3_lS6_S6_lS7_T4_lS6_S6_l,"axG",@progbits,_ZN9rocsolver6v33100L16mfma_gemm_kernelIdldPKPdS4_S2_EEv18rocblas_operation_S5_T0_S6_S6_T1_T2_lS6_S6_lT3_lS6_S6_lS7_T4_lS6_S6_l,comdat
	.globl	_ZN9rocsolver6v33100L16mfma_gemm_kernelIdldPKPdS4_S2_EEv18rocblas_operation_S5_T0_S6_S6_T1_T2_lS6_S6_lT3_lS6_S6_lS7_T4_lS6_S6_l ; -- Begin function _ZN9rocsolver6v33100L16mfma_gemm_kernelIdldPKPdS4_S2_EEv18rocblas_operation_S5_T0_S6_S6_T1_T2_lS6_S6_lT3_lS6_S6_lS7_T4_lS6_S6_l
	.p2align	8
	.type	_ZN9rocsolver6v33100L16mfma_gemm_kernelIdldPKPdS4_S2_EEv18rocblas_operation_S5_T0_S6_S6_T1_T2_lS6_S6_lT3_lS6_S6_lS7_T4_lS6_S6_l,@function
_ZN9rocsolver6v33100L16mfma_gemm_kernelIdldPKPdS4_S2_EEv18rocblas_operation_S5_T0_S6_S6_T1_T2_lS6_S6_lT3_lS6_S6_lS7_T4_lS6_S6_l: ; @_ZN9rocsolver6v33100L16mfma_gemm_kernelIdldPKPdS4_S2_EEv18rocblas_operation_S5_T0_S6_S6_T1_T2_lS6_S6_lT3_lS6_S6_lS7_T4_lS6_S6_l
; %bb.0:
	s_load_dword s0, s[4:5], 0xb4
	s_load_dwordx16 s[12:27], s[4:5], 0x8
	v_and_b32_e32 v1, 0x3ff, v0
	v_lshrrev_b32_e32 v8, 6, v1
	v_mov_b32_e32 v9, 0
	s_waitcnt lgkmcnt(0)
	s_lshr_b32 s2, s0, 16
	s_bfe_u32 s0, s0, 0xa0006
	v_bfe_u32 v2, v0, 10, 10
	v_mov_b32_e32 v0, s6
	v_mov_b32_e32 v3, v9
	v_mad_u64_u32 v[22:23], s[0:1], s0, v0, v[8:9]
	v_mov_b32_e32 v0, s7
	v_mad_u64_u32 v[26:27], s[0:1], s2, v0, v[2:3]
	v_lshlrev_b64 v[12:13], 4, v[22:23]
	v_lshlrev_b64 v[14:15], 4, v[26:27]
	v_cmp_gt_i64_e32 vcc, s[12:13], v[12:13]
	v_cmp_gt_i64_e64 s[0:1], s[14:15], v[14:15]
	s_and_b64 s[0:1], vcc, s[0:1]
	s_and_saveexec_b64 s[2:3], s[0:1]
	s_cbranch_execz .LBB51_36
; %bb.1:
	v_add_co_u32_e32 v2, vcc, 16, v12
	v_addc_co_u32_e32 v3, vcc, 0, v13, vcc
	s_and_b32 s0, s12, 15
	v_mov_b32_e32 v0, s0
	v_cmp_lt_u64_e32 vcc, s[12:13], v[2:3]
	v_cndmask_b32_e32 v8, 16, v0, vcc
	v_add_co_u32_e32 v2, vcc, 16, v14
	v_addc_co_u32_e32 v3, vcc, 0, v15, vcc
	s_and_b32 s0, s14, 15
	v_mov_b32_e32 v0, s0
	v_cmp_lt_u64_e32 vcc, s[14:15], v[2:3]
	v_cndmask_b32_e32 v16, 16, v0, vcc
	v_mov_b32_e32 v17, v9
	v_bfe_u32 v18, v1, 2, 4
	v_mov_b32_e32 v19, v9
	v_cmp_lt_i64_e64 s[0:1], s[16:17], 1
	v_pk_mov_b32 v[6:7], 0, 0
	s_mov_b32 s9, 0
	v_and_b32_e32 v21, 63, v1
	v_and_b32_e32 v10, 3, v1
	v_mov_b32_e32 v11, v9
	s_and_b64 vcc, exec, s[0:1]
	v_cmp_lt_u64_e64 s[0:1], v[18:19], v[16:17]
	v_mbcnt_lo_u32_b32 v34, -1, 0
	v_pk_mov_b32 v[4:5], v[6:7], v[6:7] op_sel:[0,1]
	v_pk_mov_b32 v[2:3], v[6:7], v[6:7] op_sel:[0,1]
	;; [unrolled: 1-line block ×3, first 2 shown]
	s_cbranch_vccnz .LBB51_28
; %bb.2:
	s_load_dwordx2 s[2:3], s[4:5], 0x0
	s_load_dwordx8 s[36:43], s[4:5], 0x50
	v_mov_b32_e32 v1, 0
	v_and_b32_e32 v0, 15, v21
	v_lshrrev_b32_e32 v20, 4, v21
	s_waitcnt lgkmcnt(0)
	s_cmpk_lg_i32 s2, 0x6f
	s_cselect_b64 s[12:13], -1, 0
	s_cmpk_lg_i32 s3, 0x6f
	s_cselect_b64 s[14:15], -1, 0
	s_lshl_b64 s[6:7], s[8:9], 3
	s_add_u32 s10, s36, s6
	s_addc_u32 s11, s37, s7
	s_cmpk_eq_i32 s3, 0x6f
	s_cselect_b32 s9, s42, s40
	s_cselect_b32 s33, s43, s41
	s_add_u32 s6, s20, s6
	s_addc_u32 s7, s21, s7
	s_cmpk_eq_i32 s2, 0x6f
	s_cselect_b32 s30, s24, s26
	s_cselect_b32 s31, s25, s27
	s_load_dwordx2 s[28:29], s[10:11], 0x0
	s_load_dwordx2 s[20:21], s[6:7], 0x0
	v_cmp_lt_u64_e64 s[6:7], v[0:1], v[8:9]
	v_cmp_lt_u64_e64 s[10:11], v[0:1], v[16:17]
	v_mul_lo_u32 v1, s31, v22
	v_mul_lo_u32 v4, s30, v23
	v_mad_u64_u32 v[2:3], s[30:31], s30, v22, 0
	v_add3_u32 v3, v3, v4, v1
	v_mad_u64_u32 v[4:5], s[30:31], s26, v20, 0
	v_mov_b32_e32 v6, v5
	v_mad_u64_u32 v[6:7], s[30:31], s27, v20, v[6:7]
	v_mov_b32_e32 v5, v6
	v_lshlrev_b64 v[2:3], 7, v[2:3]
	v_lshlrev_b64 v[4:5], 3, v[4:5]
	v_add_co_u32_e32 v1, vcc, v2, v4
	v_addc_co_u32_e32 v22, vcc, v3, v5, vcc
	v_mad_u64_u32 v[4:5], s[30:31], s24, v0, 0
	v_mov_b32_e32 v6, v5
	v_mad_u64_u32 v[6:7], s[30:31], s25, v0, v[6:7]
	v_mov_b32_e32 v5, v6
	v_lshlrev_b64 v[4:5], 3, v[4:5]
	s_lshl_b64 s[22:23], s[22:23], 3
	v_add_co_u32_e32 v1, vcc, v1, v4
	s_waitcnt lgkmcnt(0)
	s_add_u32 s30, s20, s22
	v_addc_co_u32_e32 v4, vcc, v22, v5, vcc
	s_addc_u32 s31, s21, s23
	v_mov_b32_e32 v5, s31
	v_add_co_u32_e32 v22, vcc, s30, v1
	v_addc_co_u32_e32 v23, vcc, v5, v4, vcc
	v_mad_u64_u32 v[4:5], s[22:23], s26, v18, 0
	v_mov_b32_e32 v6, v5
	v_mad_u64_u32 v[6:7], s[22:23], s27, v18, v[6:7]
	v_mov_b32_e32 v5, v6
	v_lshlrev_b64 v[4:5], 3, v[4:5]
	v_add_co_u32_e32 v1, vcc, v2, v4
	v_addc_co_u32_e32 v6, vcc, v3, v5, vcc
	v_mad_u64_u32 v[2:3], s[22:23], s24, v10, 0
	v_mov_b32_e32 v4, v3
	v_mad_u64_u32 v[4:5], s[22:23], s25, v10, v[4:5]
	v_mov_b32_e32 v3, v4
	v_lshlrev_b64 v[2:3], 3, v[2:3]
	v_add_co_u32_e32 v1, vcc, v1, v2
	v_addc_co_u32_e32 v2, vcc, v6, v3, vcc
	v_mov_b32_e32 v3, s31
	v_add_co_u32_e32 v24, vcc, s30, v1
	v_addc_co_u32_e32 v25, vcc, v3, v2, vcc
	s_lshl_b64 s[22:23], s[24:25], 5
	v_mul_lo_u32 v1, s33, v26
	v_mul_lo_u32 v4, s9, v27
	v_mad_u64_u32 v[2:3], s[24:25], s9, v26, 0
	v_add3_u32 v3, v3, v4, v1
	v_mad_u64_u32 v[4:5], s[24:25], s42, v18, 0
	v_mov_b32_e32 v6, v5
	v_mad_u64_u32 v[6:7], s[24:25], s43, v18, v[6:7]
	v_mov_b32_e32 v5, v6
	v_lshlrev_b64 v[2:3], 7, v[2:3]
	v_lshlrev_b64 v[4:5], 3, v[4:5]
	v_add_co_u32_e32 v1, vcc, v2, v4
	v_addc_co_u32_e32 v26, vcc, v3, v5, vcc
	v_mad_u64_u32 v[4:5], s[24:25], s40, v10, 0
	v_mov_b32_e32 v6, v5
	v_mad_u64_u32 v[6:7], s[24:25], s41, v10, v[6:7]
	v_mov_b32_e32 v5, v6
	s_lshl_b64 s[20:21], s[26:27], 5
	v_lshlrev_b64 v[4:5], 3, v[4:5]
	s_lshl_b64 s[24:25], s[38:39], 3
	v_add_co_u32_e32 v1, vcc, v1, v4
	s_add_u32 s9, s28, s24
	v_addc_co_u32_e32 v4, vcc, v26, v5, vcc
	s_addc_u32 s28, s29, s25
	v_mov_b32_e32 v5, s28
	v_add_co_u32_e32 v26, vcc, s9, v1
	v_addc_co_u32_e32 v27, vcc, v5, v4, vcc
	v_mad_u64_u32 v[4:5], s[26:27], s42, v20, 0
	v_mov_b32_e32 v6, v5
	v_mad_u64_u32 v[6:7], s[26:27], s43, v20, v[6:7]
	v_mov_b32_e32 v5, v6
	v_lshlrev_b64 v[4:5], 3, v[4:5]
	v_add_co_u32_e32 v6, vcc, v2, v4
	v_addc_co_u32_e32 v5, vcc, v3, v5, vcc
	v_mad_u64_u32 v[2:3], s[26:27], s40, v0, 0
	v_mov_b32_e32 v4, v3
	v_lshl_or_b32 v30, v0, 2, v20
	v_mad_u64_u32 v[0:1], s[26:27], s41, v0, v[4:5]
	v_mov_b32_e32 v3, v0
	v_lshlrev_b64 v[0:1], 3, v[2:3]
	v_add_co_u32_e32 v0, vcc, v6, v0
	v_addc_co_u32_e32 v1, vcc, v5, v1, vcc
	v_mov_b32_e32 v2, s28
	v_add_co_u32_e32 v28, vcc, s9, v0
	v_addc_co_u32_e32 v29, vcc, v2, v1, vcc
	v_mbcnt_hi_u32_b32 v2, -1, v34
	v_pk_mov_b32 v[0:1], 0, 0
	v_and_or_b32 v2, v2, 64, v30
	v_cmp_lt_u64_e64 s[2:3], v[18:19], v[8:9]
	s_lshl_b64 s[24:25], s[40:41], 5
	s_lshl_b64 s[26:27], s[42:43], 5
	s_mov_b64 s[28:29], 0
	v_lshlrev_b32_e32 v35, 2, v2
	v_pk_mov_b32 v[2:3], v[0:1], v[0:1] op_sel:[0,1]
	v_pk_mov_b32 v[4:5], v[0:1], v[0:1] op_sel:[0,1]
	;; [unrolled: 1-line block ×3, first 2 shown]
	s_branch .LBB51_6
.LBB51_3:                               ;   in Loop: Header=BB51_6 Depth=1
	s_or_b64 exec, exec, s[34:35]
.LBB51_4:                               ;   in Loop: Header=BB51_6 Depth=1
	s_or_b64 exec, exec, s[30:31]
	s_waitcnt vmcnt(0)
	ds_bpermute_b32 v32, v35, v32
	ds_bpermute_b32 v33, v35, v33
.LBB51_5:                               ;   in Loop: Header=BB51_6 Depth=1
	v_mov_b32_e32 v36, s21
	v_add_co_u32_e32 v22, vcc, s20, v22
	v_addc_co_u32_e32 v23, vcc, v23, v36, vcc
	v_mov_b32_e32 v36, s23
	v_add_co_u32_e32 v24, vcc, s22, v24
	s_waitcnt vmcnt(0) lgkmcnt(0)
	v_mfma_f64_16x16x4f64 v[0:7], v[30:31], v[32:33], v[0:7]
	s_add_u32 s28, s28, 4
	s_addc_u32 s29, s29, 0
	v_addc_co_u32_e32 v25, vcc, v25, v36, vcc
	v_mov_b32_e32 v36, s25
	v_add_co_u32_e32 v26, vcc, s24, v26
	v_addc_co_u32_e32 v27, vcc, v27, v36, vcc
	v_mov_b32_e32 v30, s27
	v_add_co_u32_e32 v28, vcc, s26, v28
	v_addc_co_u32_e32 v29, vcc, v29, v30, vcc
	v_pk_mov_b32 v[30:31], s[16:17], s[16:17] op_sel:[0,1]
	v_cmp_ge_i64_e32 vcc, s[28:29], v[30:31]
	s_cbranch_vccnz .LBB51_28
.LBB51_6:                               ; =>This Inner Loop Header: Depth=1
	s_and_b64 vcc, exec, s[12:13]
	s_cbranch_vccz .LBB51_18
; %bb.7:                                ;   in Loop: Header=BB51_6 Depth=1
	v_pk_mov_b32 v[30:31], 0, 0
	s_and_saveexec_b64 s[30:31], s[2:3]
	s_cbranch_execz .LBB51_11
; %bb.8:                                ;   in Loop: Header=BB51_6 Depth=1
	v_mov_b32_e32 v31, s29
	v_add_co_u32_e32 v30, vcc, s28, v10
	v_addc_co_u32_e32 v31, vcc, 0, v31, vcc
	v_cmp_gt_i64_e32 vcc, s[16:17], v[30:31]
	v_pk_mov_b32 v[30:31], 0, 0
	s_and_saveexec_b64 s[34:35], vcc
	s_cbranch_execz .LBB51_10
; %bb.9:                                ;   in Loop: Header=BB51_6 Depth=1
	global_load_dwordx2 v[30:31], v[24:25], off
.LBB51_10:                              ;   in Loop: Header=BB51_6 Depth=1
	s_or_b64 exec, exec, s[34:35]
.LBB51_11:                              ;   in Loop: Header=BB51_6 Depth=1
	s_or_b64 exec, exec, s[30:31]
	s_waitcnt vmcnt(0)
	ds_bpermute_b32 v30, v35, v30
	ds_bpermute_b32 v31, v35, v31
.LBB51_12:                              ;   in Loop: Header=BB51_6 Depth=1
	s_and_b64 vcc, exec, s[14:15]
	s_cbranch_vccz .LBB51_24
.LBB51_13:                              ;   in Loop: Header=BB51_6 Depth=1
	v_pk_mov_b32 v[32:33], 0, 0
	s_and_saveexec_b64 s[30:31], s[10:11]
	s_cbranch_execz .LBB51_17
; %bb.14:                               ;   in Loop: Header=BB51_6 Depth=1
	v_mov_b32_e32 v33, s29
	v_add_co_u32_e32 v32, vcc, s28, v20
	v_addc_co_u32_e32 v33, vcc, 0, v33, vcc
	v_cmp_gt_i64_e32 vcc, s[16:17], v[32:33]
	v_pk_mov_b32 v[32:33], 0, 0
	s_and_saveexec_b64 s[34:35], vcc
	s_cbranch_execz .LBB51_16
; %bb.15:                               ;   in Loop: Header=BB51_6 Depth=1
	global_load_dwordx2 v[32:33], v[28:29], off
.LBB51_16:                              ;   in Loop: Header=BB51_6 Depth=1
	s_or_b64 exec, exec, s[34:35]
.LBB51_17:                              ;   in Loop: Header=BB51_6 Depth=1
	s_or_b64 exec, exec, s[30:31]
	s_cbranch_execnz .LBB51_5
	s_branch .LBB51_25
.LBB51_18:                              ;   in Loop: Header=BB51_6 Depth=1
                                        ; implicit-def: $vgpr30_vgpr31
	s_cbranch_execz .LBB51_12
; %bb.19:                               ;   in Loop: Header=BB51_6 Depth=1
	s_waitcnt lgkmcnt(0)
	v_pk_mov_b32 v[30:31], 0, 0
	s_and_saveexec_b64 s[30:31], s[6:7]
	s_cbranch_execz .LBB51_23
; %bb.20:                               ;   in Loop: Header=BB51_6 Depth=1
	v_mov_b32_e32 v31, s29
	v_add_co_u32_e32 v30, vcc, s28, v20
	v_addc_co_u32_e32 v31, vcc, 0, v31, vcc
	v_cmp_gt_i64_e32 vcc, s[16:17], v[30:31]
	v_pk_mov_b32 v[30:31], 0, 0
	s_and_saveexec_b64 s[34:35], vcc
	s_cbranch_execz .LBB51_22
; %bb.21:                               ;   in Loop: Header=BB51_6 Depth=1
	global_load_dwordx2 v[30:31], v[22:23], off
.LBB51_22:                              ;   in Loop: Header=BB51_6 Depth=1
	s_or_b64 exec, exec, s[34:35]
.LBB51_23:                              ;   in Loop: Header=BB51_6 Depth=1
	s_or_b64 exec, exec, s[30:31]
	s_and_b64 vcc, exec, s[14:15]
	s_cbranch_vccnz .LBB51_13
.LBB51_24:                              ;   in Loop: Header=BB51_6 Depth=1
                                        ; implicit-def: $vgpr32_vgpr33
.LBB51_25:                              ;   in Loop: Header=BB51_6 Depth=1
	s_waitcnt vmcnt(0)
	v_pk_mov_b32 v[32:33], 0, 0
	s_and_saveexec_b64 s[30:31], s[0:1]
	s_cbranch_execz .LBB51_4
; %bb.26:                               ;   in Loop: Header=BB51_6 Depth=1
	v_mov_b32_e32 v33, s29
	v_add_co_u32_e32 v32, vcc, s28, v10
	v_addc_co_u32_e32 v33, vcc, 0, v33, vcc
	v_cmp_gt_i64_e32 vcc, s[16:17], v[32:33]
	v_pk_mov_b32 v[32:33], 0, 0
	s_and_saveexec_b64 s[34:35], vcc
	s_cbranch_execz .LBB51_3
; %bb.27:                               ;   in Loop: Header=BB51_6 Depth=1
	global_load_dwordx2 v[32:33], v[26:27], off
	s_branch .LBB51_3
.LBB51_28:
	s_load_dwordx4 s[0:3], s[4:5], 0x98
	s_load_dwordx8 s[20:27], s[4:5], 0x78
	s_waitcnt lgkmcnt(0)
	s_mul_i32 s3, s8, s3
	s_mul_hi_u32 s4, s8, s2
	s_mul_i32 s2, s8, s2
	s_add_i32 s3, s4, s3
	s_lshl_b64 s[2:3], s[2:3], 3
	s_add_u32 s4, s22, s2
	s_addc_u32 s5, s23, s3
	s_lshl_b64 s[2:3], s[24:25], 3
	s_add_u32 s4, s4, s2
	s_addc_u32 s5, s5, s3
	v_mul_lo_u32 v20, v15, s0
	v_mul_lo_u32 v22, v14, s1
	v_mad_u64_u32 v[14:15], s[2:3], v14, s0, 0
	v_add3_u32 v15, v15, v22, v20
	v_mul_lo_u32 v20, v13, s26
	v_mul_lo_u32 v22, v12, s27
	v_mad_u64_u32 v[12:13], s[2:3], v12, s26, 0
	v_lshlrev_b64 v[14:15], 3, v[14:15]
	v_add3_u32 v13, v13, v22, v20
	v_mov_b32_e32 v20, s5
	v_add_co_u32_e32 v14, vcc, s4, v14
	v_addc_co_u32_e32 v15, vcc, v20, v15, vcc
	v_lshlrev_b64 v[12:13], 3, v[12:13]
	v_add_co_u32_e32 v20, vcc, v14, v12
	v_lshl_or_b32 v12, v21, 4, v18
	v_addc_co_u32_e32 v15, vcc, v15, v13, vcc
	v_mbcnt_hi_u32_b32 v13, -1, v34
	v_and_b32_e32 v12, 63, v12
	v_and_or_b32 v12, v13, 64, v12
	v_lshlrev_b32_e32 v14, 2, v12
	v_mad_u64_u32 v[12:13], s[2:3], v18, s0, 0
	v_cmp_lt_u64_e32 vcc, v[18:19], v[16:17]
	v_mov_b32_e32 v16, v13
	v_mad_u64_u32 v[16:17], s[0:1], v18, s1, v[16:17]
	v_mov_b32_e32 v13, v16
	v_lshlrev_b64 v[12:13], 3, v[12:13]
	ds_bpermute_b32 v0, v14, v0
	ds_bpermute_b32 v1, v14, v1
	v_add_co_u32_e64 v12, s[0:1], v20, v12
	v_addc_co_u32_e64 v13, s[0:1], v15, v13, s[0:1]
	v_cmp_lt_u64_e64 s[0:1], v[10:11], v[8:9]
	s_and_b64 s[0:1], vcc, s[0:1]
	s_and_saveexec_b64 s[2:3], s[0:1]
	s_cbranch_execz .LBB51_30
; %bb.29:
	v_mad_u64_u32 v[16:17], s[0:1], v10, s26, 0
	v_mov_b32_e32 v18, v17
	v_mad_u64_u32 v[18:19], s[0:1], v10, s27, v[18:19]
	v_mov_b32_e32 v17, v18
	v_lshlrev_b64 v[16:17], 3, v[16:17]
	v_add_co_u32_e64 v16, s[0:1], v12, v16
	v_addc_co_u32_e64 v17, s[0:1], v13, v17, s[0:1]
	global_load_dwordx2 v[18:19], v[16:17], off
	s_waitcnt vmcnt(0)
	v_mul_f64 v[18:19], v[18:19], s[20:21]
	s_waitcnt lgkmcnt(0)
	v_fmac_f64_e32 v[18:19], s[18:19], v[0:1]
	global_store_dwordx2 v[16:17], v[18:19], off
.LBB51_30:
	s_or_b64 exec, exec, s[2:3]
	s_waitcnt lgkmcnt(1)
	ds_bpermute_b32 v0, v14, v2
	s_waitcnt lgkmcnt(1)
	ds_bpermute_b32 v1, v14, v3
	v_or_b32_e32 v2, 4, v10
	v_mov_b32_e32 v3, v11
	v_cmp_lt_u64_e64 s[0:1], v[2:3], v[8:9]
	s_and_b64 s[0:1], vcc, s[0:1]
	s_and_saveexec_b64 s[2:3], s[0:1]
	s_cbranch_execz .LBB51_32
; %bb.31:
	v_mad_u64_u32 v[16:17], s[0:1], v2, s26, 0
	v_mov_b32_e32 v18, v17
	v_mad_u64_u32 v[2:3], s[0:1], v2, s27, v[18:19]
	v_mov_b32_e32 v17, v2
	v_lshlrev_b64 v[2:3], 3, v[16:17]
	v_add_co_u32_e64 v2, s[0:1], v12, v2
	v_addc_co_u32_e64 v3, s[0:1], v13, v3, s[0:1]
	global_load_dwordx2 v[16:17], v[2:3], off
	s_waitcnt vmcnt(0)
	v_mul_f64 v[16:17], v[16:17], s[20:21]
	s_waitcnt lgkmcnt(0)
	v_fmac_f64_e32 v[16:17], s[18:19], v[0:1]
	global_store_dwordx2 v[2:3], v[16:17], off
.LBB51_32:
	s_or_b64 exec, exec, s[2:3]
	s_waitcnt lgkmcnt(1)
	ds_bpermute_b32 v0, v14, v4
	s_waitcnt lgkmcnt(1)
	ds_bpermute_b32 v1, v14, v5
	v_or_b32_e32 v2, 8, v10
	v_mov_b32_e32 v3, v11
	v_cmp_lt_u64_e64 s[0:1], v[2:3], v[8:9]
	s_and_b64 s[0:1], vcc, s[0:1]
	s_and_saveexec_b64 s[2:3], s[0:1]
	s_cbranch_execz .LBB51_34
; %bb.33:
	v_mad_u64_u32 v[4:5], s[0:1], v2, s26, 0
	v_mov_b32_e32 v16, v5
	v_mad_u64_u32 v[2:3], s[0:1], v2, s27, v[16:17]
	v_mov_b32_e32 v5, v2
	v_lshlrev_b64 v[2:3], 3, v[4:5]
	v_add_co_u32_e64 v2, s[0:1], v12, v2
	v_addc_co_u32_e64 v3, s[0:1], v13, v3, s[0:1]
	global_load_dwordx2 v[4:5], v[2:3], off
	s_waitcnt vmcnt(0)
	v_mul_f64 v[4:5], v[4:5], s[20:21]
	s_waitcnt lgkmcnt(0)
	v_fmac_f64_e32 v[4:5], s[18:19], v[0:1]
	global_store_dwordx2 v[2:3], v[4:5], off
.LBB51_34:
	s_or_b64 exec, exec, s[2:3]
	s_waitcnt lgkmcnt(1)
	ds_bpermute_b32 v0, v14, v6
	s_waitcnt lgkmcnt(1)
	ds_bpermute_b32 v1, v14, v7
	v_or_b32_e32 v10, 12, v10
	v_cmp_lt_u64_e64 s[0:1], v[10:11], v[8:9]
	s_and_b64 s[0:1], vcc, s[0:1]
	s_and_b64 exec, exec, s[0:1]
	s_cbranch_execz .LBB51_36
; %bb.35:
	v_mad_u64_u32 v[2:3], s[0:1], v10, s26, 0
	v_mov_b32_e32 v4, v3
	v_mad_u64_u32 v[4:5], s[0:1], v10, s27, v[4:5]
	v_mov_b32_e32 v3, v4
	v_lshlrev_b64 v[2:3], 3, v[2:3]
	v_add_co_u32_e32 v2, vcc, v12, v2
	v_addc_co_u32_e32 v3, vcc, v13, v3, vcc
	global_load_dwordx2 v[4:5], v[2:3], off
	s_waitcnt vmcnt(0)
	v_mul_f64 v[4:5], v[4:5], s[20:21]
	s_waitcnt lgkmcnt(0)
	v_fmac_f64_e32 v[4:5], s[18:19], v[0:1]
	global_store_dwordx2 v[2:3], v[4:5], off
.LBB51_36:
	s_endpgm
	.section	.rodata,"a",@progbits
	.p2align	6, 0x0
	.amdhsa_kernel _ZN9rocsolver6v33100L16mfma_gemm_kernelIdldPKPdS4_S2_EEv18rocblas_operation_S5_T0_S6_S6_T1_T2_lS6_S6_lT3_lS6_S6_lS7_T4_lS6_S6_l
		.amdhsa_group_segment_fixed_size 0
		.amdhsa_private_segment_fixed_size 0
		.amdhsa_kernarg_size 424
		.amdhsa_user_sgpr_count 6
		.amdhsa_user_sgpr_private_segment_buffer 1
		.amdhsa_user_sgpr_dispatch_ptr 0
		.amdhsa_user_sgpr_queue_ptr 0
		.amdhsa_user_sgpr_kernarg_segment_ptr 1
		.amdhsa_user_sgpr_dispatch_id 0
		.amdhsa_user_sgpr_flat_scratch_init 0
		.amdhsa_user_sgpr_kernarg_preload_length 0
		.amdhsa_user_sgpr_kernarg_preload_offset 0
		.amdhsa_user_sgpr_private_segment_size 0
		.amdhsa_uses_dynamic_stack 0
		.amdhsa_system_sgpr_private_segment_wavefront_offset 0
		.amdhsa_system_sgpr_workgroup_id_x 1
		.amdhsa_system_sgpr_workgroup_id_y 1
		.amdhsa_system_sgpr_workgroup_id_z 1
		.amdhsa_system_sgpr_workgroup_info 0
		.amdhsa_system_vgpr_workitem_id 1
		.amdhsa_next_free_vgpr 37
		.amdhsa_next_free_sgpr 44
		.amdhsa_accum_offset 40
		.amdhsa_reserve_vcc 1
		.amdhsa_reserve_flat_scratch 0
		.amdhsa_float_round_mode_32 0
		.amdhsa_float_round_mode_16_64 0
		.amdhsa_float_denorm_mode_32 3
		.amdhsa_float_denorm_mode_16_64 3
		.amdhsa_dx10_clamp 1
		.amdhsa_ieee_mode 1
		.amdhsa_fp16_overflow 0
		.amdhsa_tg_split 0
		.amdhsa_exception_fp_ieee_invalid_op 0
		.amdhsa_exception_fp_denorm_src 0
		.amdhsa_exception_fp_ieee_div_zero 0
		.amdhsa_exception_fp_ieee_overflow 0
		.amdhsa_exception_fp_ieee_underflow 0
		.amdhsa_exception_fp_ieee_inexact 0
		.amdhsa_exception_int_div_zero 0
	.end_amdhsa_kernel
	.section	.text._ZN9rocsolver6v33100L16mfma_gemm_kernelIdldPKPdS4_S2_EEv18rocblas_operation_S5_T0_S6_S6_T1_T2_lS6_S6_lT3_lS6_S6_lS7_T4_lS6_S6_l,"axG",@progbits,_ZN9rocsolver6v33100L16mfma_gemm_kernelIdldPKPdS4_S2_EEv18rocblas_operation_S5_T0_S6_S6_T1_T2_lS6_S6_lT3_lS6_S6_lS7_T4_lS6_S6_l,comdat
.Lfunc_end51:
	.size	_ZN9rocsolver6v33100L16mfma_gemm_kernelIdldPKPdS4_S2_EEv18rocblas_operation_S5_T0_S6_S6_T1_T2_lS6_S6_lT3_lS6_S6_lS7_T4_lS6_S6_l, .Lfunc_end51-_ZN9rocsolver6v33100L16mfma_gemm_kernelIdldPKPdS4_S2_EEv18rocblas_operation_S5_T0_S6_S6_T1_T2_lS6_S6_lT3_lS6_S6_lS7_T4_lS6_S6_l
                                        ; -- End function
	.section	.AMDGPU.csdata,"",@progbits
; Kernel info:
; codeLenInByte = 2164
; NumSgprs: 48
; NumVgprs: 37
; NumAgprs: 0
; TotalNumVgprs: 37
; ScratchSize: 0
; MemoryBound: 0
; FloatMode: 240
; IeeeMode: 1
; LDSByteSize: 0 bytes/workgroup (compile time only)
; SGPRBlocks: 5
; VGPRBlocks: 4
; NumSGPRsForWavesPerEU: 48
; NumVGPRsForWavesPerEU: 37
; AccumOffset: 40
; Occupancy: 8
; WaveLimiterHint : 1
; COMPUTE_PGM_RSRC2:SCRATCH_EN: 0
; COMPUTE_PGM_RSRC2:USER_SGPR: 6
; COMPUTE_PGM_RSRC2:TRAP_HANDLER: 0
; COMPUTE_PGM_RSRC2:TGID_X_EN: 1
; COMPUTE_PGM_RSRC2:TGID_Y_EN: 1
; COMPUTE_PGM_RSRC2:TGID_Z_EN: 1
; COMPUTE_PGM_RSRC2:TIDIG_COMP_CNT: 1
; COMPUTE_PGM_RSRC3_GFX90A:ACCUM_OFFSET: 9
; COMPUTE_PGM_RSRC3_GFX90A:TG_SPLIT: 0
	.section	.text._ZN9rocsolver6v33100L11gemm_kernelIdlPKdPKPdS6_S4_EEvT0_S7_S7_T1_bT2_lS7_S7_lbT3_lS7_S7_lS8_T4_lS7_S7_l,"axG",@progbits,_ZN9rocsolver6v33100L11gemm_kernelIdlPKdPKPdS6_S4_EEvT0_S7_S7_T1_bT2_lS7_S7_lbT3_lS7_S7_lS8_T4_lS7_S7_l,comdat
	.globl	_ZN9rocsolver6v33100L11gemm_kernelIdlPKdPKPdS6_S4_EEvT0_S7_S7_T1_bT2_lS7_S7_lbT3_lS7_S7_lS8_T4_lS7_S7_l ; -- Begin function _ZN9rocsolver6v33100L11gemm_kernelIdlPKdPKPdS6_S4_EEvT0_S7_S7_T1_bT2_lS7_S7_lbT3_lS7_S7_lS8_T4_lS7_S7_l
	.p2align	8
	.type	_ZN9rocsolver6v33100L11gemm_kernelIdlPKdPKPdS6_S4_EEvT0_S7_S7_T1_bT2_lS7_S7_lbT3_lS7_S7_lS8_T4_lS7_S7_l,@function
_ZN9rocsolver6v33100L11gemm_kernelIdlPKdPKPdS6_S4_EEvT0_S7_S7_T1_bT2_lS7_S7_lbT3_lS7_S7_lS8_T4_lS7_S7_l: ; @_ZN9rocsolver6v33100L11gemm_kernelIdlPKdPKPdS6_S4_EEvT0_S7_S7_T1_bT2_lS7_S7_lbT3_lS7_S7_lS8_T4_lS7_S7_l
; %bb.0:
	s_load_dword s0, s[4:5], 0xbc
	s_load_dwordx8 s[12:19], s[4:5], 0x0
	v_and_b32_e32 v4, 0x3ff, v0
	v_mov_b32_e32 v5, 0
	v_mov_b32_e32 v1, s6
	s_waitcnt lgkmcnt(0)
	s_lshr_b32 s2, s0, 16
	s_and_b32 s0, s0, 0xffff
	v_mad_u64_u32 v[2:3], s[0:1], s0, v1, v[4:5]
	v_bfe_u32 v4, v0, 10, 10
	v_mov_b32_e32 v0, s7
	v_mad_u64_u32 v[0:1], s[0:1], s2, v0, v[4:5]
	v_cmp_gt_i64_e32 vcc, s[12:13], v[2:3]
	v_cmp_gt_i64_e64 s[0:1], s[14:15], v[0:1]
	s_mov_b32 s9, 0
	s_and_b64 s[0:1], vcc, s[0:1]
	s_and_saveexec_b64 s[2:3], s[0:1]
	s_cbranch_execz .LBB52_6
; %bb.1:
	s_load_dwordx8 s[20:27], s[4:5], 0x80
	s_load_dwordx4 s[0:3], s[4:5], 0xa0
	v_cmp_lt_i64_e64 s[6:7], s[16:17], 1
	s_and_b64 vcc, exec, s[6:7]
	s_cbranch_vccnz .LBB52_4
; %bb.2:
	s_load_dwordx8 s[36:43], s[4:5], 0x28
	s_load_dwordx8 s[44:51], s[4:5], 0x58
	s_lshl_b64 s[4:5], s[8:9], 3
	s_waitcnt lgkmcnt(0)
	s_add_u32 s6, s36, s4
	s_addc_u32 s7, s37, s5
	s_load_dwordx2 s[6:7], s[6:7], 0x0
	s_add_u32 s4, s44, s4
	s_addc_u32 s5, s45, s5
	s_load_dwordx2 s[4:5], s[4:5], 0x0
	s_lshl_b64 s[10:11], s[38:39], 3
	s_waitcnt lgkmcnt(0)
	s_add_u32 s9, s6, s10
	s_addc_u32 s10, s7, s11
	s_lshl_b64 s[6:7], s[46:47], 3
	s_add_u32 s6, s4, s6
	v_mul_lo_u32 v6, v3, s40
	s_addc_u32 s7, s5, s7
	v_mul_lo_u32 v7, v2, s41
	v_mad_u64_u32 v[4:5], s[4:5], v2, s40, 0
	v_add3_u32 v5, v5, v7, v6
	v_lshlrev_b64 v[4:5], 3, v[4:5]
	v_mov_b32_e32 v7, s10
	v_add_co_u32_e32 v6, vcc, s9, v4
	v_addc_co_u32_e32 v7, vcc, v7, v5, vcc
	v_mul_lo_u32 v8, v1, s50
	v_mul_lo_u32 v9, v0, s51
	v_mad_u64_u32 v[4:5], s[4:5], v0, s50, 0
	v_add3_u32 v5, v5, v9, v8
	v_lshlrev_b64 v[4:5], 3, v[4:5]
	v_mov_b32_e32 v9, s7
	v_add_co_u32_e32 v8, vcc, s6, v4
	s_lshl_b64 s[4:5], s[48:49], 3
	s_lshl_b64 s[6:7], s[42:43], 3
	v_addc_co_u32_e32 v9, vcc, v9, v5, vcc
	v_pk_mov_b32 v[4:5], 0, 0
	v_mov_b32_e32 v10, s5
	v_mov_b32_e32 v11, s7
.LBB52_3:                               ; =>This Inner Loop Header: Depth=1
	global_load_dwordx2 v[12:13], v[6:7], off
	global_load_dwordx2 v[14:15], v[8:9], off
	v_add_co_u32_e32 v8, vcc, s4, v8
	v_addc_co_u32_e32 v9, vcc, v9, v10, vcc
	s_add_u32 s16, s16, -1
	v_add_co_u32_e32 v6, vcc, s6, v6
	s_addc_u32 s17, s17, -1
	v_addc_co_u32_e32 v7, vcc, v7, v11, vcc
	s_cmp_eq_u64 s[16:17], 0
	s_waitcnt vmcnt(0)
	v_fmac_f64_e32 v[4:5], v[12:13], v[14:15]
	s_cbranch_scc0 .LBB52_3
	s_branch .LBB52_5
.LBB52_4:
	v_pk_mov_b32 v[4:5], 0, 0
.LBB52_5:
	s_waitcnt lgkmcnt(0)
	s_mul_i32 s3, s8, s3
	s_mul_hi_u32 s9, s8, s2
	s_add_i32 s3, s9, s3
	s_mul_i32 s2, s8, s2
	s_lshl_b64 s[2:3], s[2:3], 3
	s_add_u32 s8, s22, s2
	s_addc_u32 s9, s23, s3
	s_lshl_b64 s[2:3], s[24:25], 3
	s_add_u32 s8, s8, s2
	s_addc_u32 s9, s9, s3
	v_mul_lo_u32 v6, v3, s26
	v_mul_lo_u32 v7, v2, s27
	v_mad_u64_u32 v[2:3], s[2:3], v2, s26, 0
	v_add3_u32 v3, v3, v7, v6
	v_mul_lo_u32 v6, v1, s0
	v_mul_lo_u32 v7, v0, s1
	v_mad_u64_u32 v[0:1], s[0:1], v0, s0, 0
	v_lshlrev_b64 v[2:3], 3, v[2:3]
	v_add3_u32 v1, v1, v7, v6
	v_mov_b32_e32 v6, s9
	v_add_co_u32_e32 v2, vcc, s8, v2
	v_addc_co_u32_e32 v3, vcc, v6, v3, vcc
	v_lshlrev_b64 v[0:1], 3, v[0:1]
	v_add_co_u32_e32 v0, vcc, v2, v0
	v_addc_co_u32_e32 v1, vcc, v3, v1, vcc
	s_load_dwordx2 s[4:5], s[18:19], 0x0
	s_load_dwordx2 s[6:7], s[20:21], 0x0
	global_load_dwordx2 v[2:3], v[0:1], off
	s_waitcnt vmcnt(0) lgkmcnt(0)
	v_mul_f64 v[2:3], s[6:7], v[2:3]
	v_fmac_f64_e32 v[2:3], s[4:5], v[4:5]
	global_store_dwordx2 v[0:1], v[2:3], off
.LBB52_6:
	s_endpgm
	.section	.rodata,"a",@progbits
	.p2align	6, 0x0
	.amdhsa_kernel _ZN9rocsolver6v33100L11gemm_kernelIdlPKdPKPdS6_S4_EEvT0_S7_S7_T1_bT2_lS7_S7_lbT3_lS7_S7_lS8_T4_lS7_S7_l
		.amdhsa_group_segment_fixed_size 0
		.amdhsa_private_segment_fixed_size 0
		.amdhsa_kernarg_size 432
		.amdhsa_user_sgpr_count 6
		.amdhsa_user_sgpr_private_segment_buffer 1
		.amdhsa_user_sgpr_dispatch_ptr 0
		.amdhsa_user_sgpr_queue_ptr 0
		.amdhsa_user_sgpr_kernarg_segment_ptr 1
		.amdhsa_user_sgpr_dispatch_id 0
		.amdhsa_user_sgpr_flat_scratch_init 0
		.amdhsa_user_sgpr_kernarg_preload_length 0
		.amdhsa_user_sgpr_kernarg_preload_offset 0
		.amdhsa_user_sgpr_private_segment_size 0
		.amdhsa_uses_dynamic_stack 0
		.amdhsa_system_sgpr_private_segment_wavefront_offset 0
		.amdhsa_system_sgpr_workgroup_id_x 1
		.amdhsa_system_sgpr_workgroup_id_y 1
		.amdhsa_system_sgpr_workgroup_id_z 1
		.amdhsa_system_sgpr_workgroup_info 0
		.amdhsa_system_vgpr_workitem_id 1
		.amdhsa_next_free_vgpr 16
		.amdhsa_next_free_sgpr 52
		.amdhsa_accum_offset 16
		.amdhsa_reserve_vcc 1
		.amdhsa_reserve_flat_scratch 0
		.amdhsa_float_round_mode_32 0
		.amdhsa_float_round_mode_16_64 0
		.amdhsa_float_denorm_mode_32 3
		.amdhsa_float_denorm_mode_16_64 3
		.amdhsa_dx10_clamp 1
		.amdhsa_ieee_mode 1
		.amdhsa_fp16_overflow 0
		.amdhsa_tg_split 0
		.amdhsa_exception_fp_ieee_invalid_op 0
		.amdhsa_exception_fp_denorm_src 0
		.amdhsa_exception_fp_ieee_div_zero 0
		.amdhsa_exception_fp_ieee_overflow 0
		.amdhsa_exception_fp_ieee_underflow 0
		.amdhsa_exception_fp_ieee_inexact 0
		.amdhsa_exception_int_div_zero 0
	.end_amdhsa_kernel
	.section	.text._ZN9rocsolver6v33100L11gemm_kernelIdlPKdPKPdS6_S4_EEvT0_S7_S7_T1_bT2_lS7_S7_lbT3_lS7_S7_lS8_T4_lS7_S7_l,"axG",@progbits,_ZN9rocsolver6v33100L11gemm_kernelIdlPKdPKPdS6_S4_EEvT0_S7_S7_T1_bT2_lS7_S7_lbT3_lS7_S7_lS8_T4_lS7_S7_l,comdat
.Lfunc_end52:
	.size	_ZN9rocsolver6v33100L11gemm_kernelIdlPKdPKPdS6_S4_EEvT0_S7_S7_T1_bT2_lS7_S7_lbT3_lS7_S7_lS8_T4_lS7_S7_l, .Lfunc_end52-_ZN9rocsolver6v33100L11gemm_kernelIdlPKdPKPdS6_S4_EEvT0_S7_S7_T1_bT2_lS7_S7_lbT3_lS7_S7_lS8_T4_lS7_S7_l
                                        ; -- End function
	.section	.AMDGPU.csdata,"",@progbits
; Kernel info:
; codeLenInByte = 612
; NumSgprs: 56
; NumVgprs: 16
; NumAgprs: 0
; TotalNumVgprs: 16
; ScratchSize: 0
; MemoryBound: 0
; FloatMode: 240
; IeeeMode: 1
; LDSByteSize: 0 bytes/workgroup (compile time only)
; SGPRBlocks: 6
; VGPRBlocks: 1
; NumSGPRsForWavesPerEU: 56
; NumVGPRsForWavesPerEU: 16
; AccumOffset: 16
; Occupancy: 8
; WaveLimiterHint : 0
; COMPUTE_PGM_RSRC2:SCRATCH_EN: 0
; COMPUTE_PGM_RSRC2:USER_SGPR: 6
; COMPUTE_PGM_RSRC2:TRAP_HANDLER: 0
; COMPUTE_PGM_RSRC2:TGID_X_EN: 1
; COMPUTE_PGM_RSRC2:TGID_Y_EN: 1
; COMPUTE_PGM_RSRC2:TGID_Z_EN: 1
; COMPUTE_PGM_RSRC2:TIDIG_COMP_CNT: 1
; COMPUTE_PGM_RSRC3_GFX90A:ACCUM_OFFSET: 3
; COMPUTE_PGM_RSRC3_GFX90A:TG_SPLIT: 0
	.section	.text._ZN9rocsolver6v33100L11gemm_kernelIdldPKPdS4_S2_EEvT0_S5_S5_T1_bT2_lS5_S5_lbT3_lS5_S5_lS6_T4_lS5_S5_l,"axG",@progbits,_ZN9rocsolver6v33100L11gemm_kernelIdldPKPdS4_S2_EEvT0_S5_S5_T1_bT2_lS5_S5_lbT3_lS5_S5_lS6_T4_lS5_S5_l,comdat
	.globl	_ZN9rocsolver6v33100L11gemm_kernelIdldPKPdS4_S2_EEvT0_S5_S5_T1_bT2_lS5_S5_lbT3_lS5_S5_lS6_T4_lS5_S5_l ; -- Begin function _ZN9rocsolver6v33100L11gemm_kernelIdldPKPdS4_S2_EEvT0_S5_S5_T1_bT2_lS5_S5_lbT3_lS5_S5_lS6_T4_lS5_S5_l
	.p2align	8
	.type	_ZN9rocsolver6v33100L11gemm_kernelIdldPKPdS4_S2_EEvT0_S5_S5_T1_bT2_lS5_S5_lbT3_lS5_S5_lS6_T4_lS5_S5_l,@function
_ZN9rocsolver6v33100L11gemm_kernelIdldPKPdS4_S2_EEvT0_S5_S5_T1_bT2_lS5_S5_lbT3_lS5_S5_lS6_T4_lS5_S5_l: ; @_ZN9rocsolver6v33100L11gemm_kernelIdldPKPdS4_S2_EEvT0_S5_S5_T1_bT2_lS5_S5_lbT3_lS5_S5_lS6_T4_lS5_S5_l
; %bb.0:
	s_load_dword s0, s[4:5], 0xbc
	s_load_dwordx8 s[12:19], s[4:5], 0x0
	v_and_b32_e32 v4, 0x3ff, v0
	v_mov_b32_e32 v5, 0
	v_mov_b32_e32 v1, s6
	s_waitcnt lgkmcnt(0)
	s_lshr_b32 s2, s0, 16
	s_and_b32 s0, s0, 0xffff
	v_mad_u64_u32 v[2:3], s[0:1], s0, v1, v[4:5]
	v_bfe_u32 v4, v0, 10, 10
	v_mov_b32_e32 v0, s7
	v_mad_u64_u32 v[0:1], s[0:1], s2, v0, v[4:5]
	v_cmp_gt_i64_e32 vcc, s[12:13], v[2:3]
	v_cmp_gt_i64_e64 s[0:1], s[14:15], v[0:1]
	s_mov_b32 s9, 0
	s_and_b64 s[0:1], vcc, s[0:1]
	s_and_saveexec_b64 s[2:3], s[0:1]
	s_cbranch_execz .LBB53_6
; %bb.1:
	v_cmp_lt_i64_e64 s[0:1], s[16:17], 1
	s_and_b64 vcc, exec, s[0:1]
	s_cbranch_vccnz .LBB53_4
; %bb.2:
	s_load_dwordx8 s[20:27], s[4:5], 0x28
	s_load_dwordx8 s[36:43], s[4:5], 0x58
	s_lshl_b64 s[0:1], s[8:9], 3
	s_waitcnt lgkmcnt(0)
	s_add_u32 s2, s20, s0
	s_addc_u32 s3, s21, s1
	s_load_dwordx2 s[2:3], s[2:3], 0x0
	s_add_u32 s0, s36, s0
	s_addc_u32 s1, s37, s1
	s_load_dwordx2 s[0:1], s[0:1], 0x0
	s_lshl_b64 s[6:7], s[22:23], 3
	s_waitcnt lgkmcnt(0)
	s_add_u32 s6, s2, s6
	s_addc_u32 s7, s3, s7
	s_lshl_b64 s[2:3], s[38:39], 3
	s_add_u32 s2, s0, s2
	v_mul_lo_u32 v6, v3, s24
	s_addc_u32 s3, s1, s3
	v_mul_lo_u32 v7, v2, s25
	v_mad_u64_u32 v[4:5], s[0:1], v2, s24, 0
	v_add3_u32 v5, v5, v7, v6
	v_lshlrev_b64 v[4:5], 3, v[4:5]
	v_mov_b32_e32 v7, s7
	v_add_co_u32_e32 v6, vcc, s6, v4
	v_addc_co_u32_e32 v7, vcc, v7, v5, vcc
	v_mul_lo_u32 v8, v1, s42
	v_mul_lo_u32 v9, v0, s43
	v_mad_u64_u32 v[4:5], s[0:1], v0, s42, 0
	v_add3_u32 v5, v5, v9, v8
	v_lshlrev_b64 v[4:5], 3, v[4:5]
	v_mov_b32_e32 v9, s3
	v_add_co_u32_e32 v8, vcc, s2, v4
	s_lshl_b64 s[0:1], s[40:41], 3
	s_lshl_b64 s[2:3], s[26:27], 3
	v_addc_co_u32_e32 v9, vcc, v9, v5, vcc
	v_pk_mov_b32 v[4:5], 0, 0
	v_mov_b32_e32 v10, s1
	v_mov_b32_e32 v11, s3
.LBB53_3:                               ; =>This Inner Loop Header: Depth=1
	global_load_dwordx2 v[12:13], v[6:7], off
	global_load_dwordx2 v[14:15], v[8:9], off
	v_add_co_u32_e32 v8, vcc, s0, v8
	v_addc_co_u32_e32 v9, vcc, v9, v10, vcc
	s_add_u32 s16, s16, -1
	v_add_co_u32_e32 v6, vcc, s2, v6
	s_addc_u32 s17, s17, -1
	v_addc_co_u32_e32 v7, vcc, v7, v11, vcc
	s_cmp_eq_u64 s[16:17], 0
	s_waitcnt vmcnt(0)
	v_fmac_f64_e32 v[4:5], v[12:13], v[14:15]
	s_cbranch_scc0 .LBB53_3
	s_branch .LBB53_5
.LBB53_4:
	v_pk_mov_b32 v[4:5], 0, 0
.LBB53_5:
	s_load_dwordx4 s[0:3], s[4:5], 0xa0
	s_load_dwordx8 s[20:27], s[4:5], 0x80
	s_waitcnt lgkmcnt(0)
	s_mul_i32 s3, s8, s3
	s_mul_hi_u32 s4, s8, s2
	s_mul_i32 s2, s8, s2
	s_add_i32 s3, s4, s3
	s_lshl_b64 s[2:3], s[2:3], 3
	s_add_u32 s4, s22, s2
	s_addc_u32 s5, s23, s3
	s_lshl_b64 s[2:3], s[24:25], 3
	s_add_u32 s4, s4, s2
	s_addc_u32 s5, s5, s3
	v_mul_lo_u32 v6, v3, s26
	v_mul_lo_u32 v7, v2, s27
	v_mad_u64_u32 v[2:3], s[2:3], v2, s26, 0
	v_add3_u32 v3, v3, v7, v6
	v_mul_lo_u32 v6, v1, s0
	v_mul_lo_u32 v7, v0, s1
	v_mad_u64_u32 v[0:1], s[0:1], v0, s0, 0
	v_lshlrev_b64 v[2:3], 3, v[2:3]
	v_add3_u32 v1, v1, v7, v6
	v_mov_b32_e32 v6, s5
	v_add_co_u32_e32 v2, vcc, s4, v2
	v_addc_co_u32_e32 v3, vcc, v6, v3, vcc
	v_lshlrev_b64 v[0:1], 3, v[0:1]
	v_add_co_u32_e32 v0, vcc, v2, v0
	v_addc_co_u32_e32 v1, vcc, v3, v1, vcc
	global_load_dwordx2 v[2:3], v[0:1], off
	s_waitcnt vmcnt(0)
	v_mul_f64 v[2:3], v[2:3], s[20:21]
	v_fmac_f64_e32 v[2:3], s[18:19], v[4:5]
	global_store_dwordx2 v[0:1], v[2:3], off
.LBB53_6:
	s_endpgm
	.section	.rodata,"a",@progbits
	.p2align	6, 0x0
	.amdhsa_kernel _ZN9rocsolver6v33100L11gemm_kernelIdldPKPdS4_S2_EEvT0_S5_S5_T1_bT2_lS5_S5_lbT3_lS5_S5_lS6_T4_lS5_S5_l
		.amdhsa_group_segment_fixed_size 0
		.amdhsa_private_segment_fixed_size 0
		.amdhsa_kernarg_size 432
		.amdhsa_user_sgpr_count 6
		.amdhsa_user_sgpr_private_segment_buffer 1
		.amdhsa_user_sgpr_dispatch_ptr 0
		.amdhsa_user_sgpr_queue_ptr 0
		.amdhsa_user_sgpr_kernarg_segment_ptr 1
		.amdhsa_user_sgpr_dispatch_id 0
		.amdhsa_user_sgpr_flat_scratch_init 0
		.amdhsa_user_sgpr_kernarg_preload_length 0
		.amdhsa_user_sgpr_kernarg_preload_offset 0
		.amdhsa_user_sgpr_private_segment_size 0
		.amdhsa_uses_dynamic_stack 0
		.amdhsa_system_sgpr_private_segment_wavefront_offset 0
		.amdhsa_system_sgpr_workgroup_id_x 1
		.amdhsa_system_sgpr_workgroup_id_y 1
		.amdhsa_system_sgpr_workgroup_id_z 1
		.amdhsa_system_sgpr_workgroup_info 0
		.amdhsa_system_vgpr_workitem_id 1
		.amdhsa_next_free_vgpr 16
		.amdhsa_next_free_sgpr 44
		.amdhsa_accum_offset 16
		.amdhsa_reserve_vcc 1
		.amdhsa_reserve_flat_scratch 0
		.amdhsa_float_round_mode_32 0
		.amdhsa_float_round_mode_16_64 0
		.amdhsa_float_denorm_mode_32 3
		.amdhsa_float_denorm_mode_16_64 3
		.amdhsa_dx10_clamp 1
		.amdhsa_ieee_mode 1
		.amdhsa_fp16_overflow 0
		.amdhsa_tg_split 0
		.amdhsa_exception_fp_ieee_invalid_op 0
		.amdhsa_exception_fp_denorm_src 0
		.amdhsa_exception_fp_ieee_div_zero 0
		.amdhsa_exception_fp_ieee_overflow 0
		.amdhsa_exception_fp_ieee_underflow 0
		.amdhsa_exception_fp_ieee_inexact 0
		.amdhsa_exception_int_div_zero 0
	.end_amdhsa_kernel
	.section	.text._ZN9rocsolver6v33100L11gemm_kernelIdldPKPdS4_S2_EEvT0_S5_S5_T1_bT2_lS5_S5_lbT3_lS5_S5_lS6_T4_lS5_S5_l,"axG",@progbits,_ZN9rocsolver6v33100L11gemm_kernelIdldPKPdS4_S2_EEvT0_S5_S5_T1_bT2_lS5_S5_lbT3_lS5_S5_lS6_T4_lS5_S5_l,comdat
.Lfunc_end53:
	.size	_ZN9rocsolver6v33100L11gemm_kernelIdldPKPdS4_S2_EEvT0_S5_S5_T1_bT2_lS5_S5_lbT3_lS5_S5_lS6_T4_lS5_S5_l, .Lfunc_end53-_ZN9rocsolver6v33100L11gemm_kernelIdldPKPdS4_S2_EEvT0_S5_S5_T1_bT2_lS5_S5_lbT3_lS5_S5_lS6_T4_lS5_S5_l
                                        ; -- End function
	.section	.AMDGPU.csdata,"",@progbits
; Kernel info:
; codeLenInByte = 596
; NumSgprs: 48
; NumVgprs: 16
; NumAgprs: 0
; TotalNumVgprs: 16
; ScratchSize: 0
; MemoryBound: 0
; FloatMode: 240
; IeeeMode: 1
; LDSByteSize: 0 bytes/workgroup (compile time only)
; SGPRBlocks: 5
; VGPRBlocks: 1
; NumSGPRsForWavesPerEU: 48
; NumVGPRsForWavesPerEU: 16
; AccumOffset: 16
; Occupancy: 8
; WaveLimiterHint : 0
; COMPUTE_PGM_RSRC2:SCRATCH_EN: 0
; COMPUTE_PGM_RSRC2:USER_SGPR: 6
; COMPUTE_PGM_RSRC2:TRAP_HANDLER: 0
; COMPUTE_PGM_RSRC2:TGID_X_EN: 1
; COMPUTE_PGM_RSRC2:TGID_Y_EN: 1
; COMPUTE_PGM_RSRC2:TGID_Z_EN: 1
; COMPUTE_PGM_RSRC2:TIDIG_COMP_CNT: 1
; COMPUTE_PGM_RSRC3_GFX90A:ACCUM_OFFSET: 3
; COMPUTE_PGM_RSRC3_GFX90A:TG_SPLIT: 0
	.section	.text._ZN9rocsolver6v33100L16mfma_gemm_kernelIdlPKdPKPdS4_S4_EEv18rocblas_operation_S7_T0_S8_S8_T1_T2_lS8_S8_lT3_lS8_S8_lS9_T4_lS8_S8_l,"axG",@progbits,_ZN9rocsolver6v33100L16mfma_gemm_kernelIdlPKdPKPdS4_S4_EEv18rocblas_operation_S7_T0_S8_S8_T1_T2_lS8_S8_lT3_lS8_S8_lS9_T4_lS8_S8_l,comdat
	.globl	_ZN9rocsolver6v33100L16mfma_gemm_kernelIdlPKdPKPdS4_S4_EEv18rocblas_operation_S7_T0_S8_S8_T1_T2_lS8_S8_lT3_lS8_S8_lS9_T4_lS8_S8_l ; -- Begin function _ZN9rocsolver6v33100L16mfma_gemm_kernelIdlPKdPKPdS4_S4_EEv18rocblas_operation_S7_T0_S8_S8_T1_T2_lS8_S8_lT3_lS8_S8_lS9_T4_lS8_S8_l
	.p2align	8
	.type	_ZN9rocsolver6v33100L16mfma_gemm_kernelIdlPKdPKPdS4_S4_EEv18rocblas_operation_S7_T0_S8_S8_T1_T2_lS8_S8_lT3_lS8_S8_lS9_T4_lS8_S8_l,@function
_ZN9rocsolver6v33100L16mfma_gemm_kernelIdlPKdPKPdS4_S4_EEv18rocblas_operation_S7_T0_S8_S8_T1_T2_lS8_S8_lT3_lS8_S8_lS9_T4_lS8_S8_l: ; @_ZN9rocsolver6v33100L16mfma_gemm_kernelIdlPKdPKPdS4_S4_EEv18rocblas_operation_S7_T0_S8_S8_T1_T2_lS8_S8_lT3_lS8_S8_lS9_T4_lS8_S8_l
; %bb.0:
	s_load_dword s0, s[4:5], 0xb4
	s_load_dwordx16 s[36:51], s[4:5], 0x8
	v_and_b32_e32 v1, 0x3ff, v0
	v_lshrrev_b32_e32 v8, 6, v1
	v_mov_b32_e32 v9, 0
	s_waitcnt lgkmcnt(0)
	s_lshr_b32 s2, s0, 16
	s_bfe_u32 s0, s0, 0xa0006
	v_bfe_u32 v2, v0, 10, 10
	v_mov_b32_e32 v0, s6
	v_mov_b32_e32 v3, v9
	v_mad_u64_u32 v[22:23], s[0:1], s0, v0, v[8:9]
	v_mov_b32_e32 v0, s7
	v_mad_u64_u32 v[26:27], s[0:1], s2, v0, v[2:3]
	v_lshlrev_b64 v[12:13], 4, v[22:23]
	v_lshlrev_b64 v[14:15], 4, v[26:27]
	v_cmp_gt_i64_e32 vcc, s[36:37], v[12:13]
	v_cmp_gt_i64_e64 s[0:1], s[38:39], v[14:15]
	s_and_b64 s[0:1], vcc, s[0:1]
	s_and_saveexec_b64 s[2:3], s[0:1]
	s_cbranch_execz .LBB54_36
; %bb.1:
	s_load_dwordx16 s[12:27], s[4:5], 0x50
	v_add_co_u32_e32 v2, vcc, 16, v12
	v_addc_co_u32_e32 v3, vcc, 0, v13, vcc
	s_and_b32 s0, s36, 15
	v_mov_b32_e32 v0, s0
	v_cmp_lt_u64_e32 vcc, s[36:37], v[2:3]
	v_cndmask_b32_e32 v8, 16, v0, vcc
	v_add_co_u32_e32 v2, vcc, 16, v14
	s_load_dwordx2 s[28:29], s[42:43], 0x0
	s_waitcnt lgkmcnt(0)
	s_load_dwordx2 s[30:31], s[22:23], 0x0
	v_addc_co_u32_e32 v3, vcc, 0, v15, vcc
	s_and_b32 s0, s38, 15
	v_mov_b32_e32 v0, s0
	v_cmp_lt_u64_e32 vcc, s[38:39], v[2:3]
	v_cndmask_b32_e32 v16, 16, v0, vcc
	v_mov_b32_e32 v17, v9
	v_bfe_u32 v18, v1, 2, 4
	v_mov_b32_e32 v19, v9
	v_cmp_lt_i64_e64 s[0:1], s[40:41], 1
	v_pk_mov_b32 v[6:7], 0, 0
	s_mov_b32 s9, 0
	v_and_b32_e32 v21, 63, v1
	v_and_b32_e32 v10, 3, v1
	v_mov_b32_e32 v11, v9
	s_and_b64 vcc, exec, s[0:1]
	v_cmp_lt_u64_e64 s[0:1], v[18:19], v[16:17]
	v_mbcnt_lo_u32_b32 v34, -1, 0
	v_pk_mov_b32 v[4:5], v[6:7], v[6:7] op_sel:[0,1]
	v_pk_mov_b32 v[2:3], v[6:7], v[6:7] op_sel:[0,1]
	;; [unrolled: 1-line block ×3, first 2 shown]
	s_cbranch_vccnz .LBB54_28
; %bb.2:
	s_load_dwordx2 s[2:3], s[4:5], 0x0
	v_mov_b32_e32 v1, 0
	v_and_b32_e32 v0, 15, v21
	v_lshrrev_b32_e32 v20, 4, v21
	v_cmp_lt_u64_e64 s[10:11], v[0:1], v[16:17]
	s_waitcnt lgkmcnt(0)
	s_cmpk_lg_i32 s2, 0x6f
	s_cselect_b64 s[22:23], -1, 0
	s_cmpk_lg_i32 s3, 0x6f
	s_cselect_b64 s[34:35], -1, 0
	s_cmpk_eq_i32 s3, 0x6f
	s_cselect_b32 s33, s18, s16
	s_cselect_b32 s42, s19, s17
	s_lshl_b64 s[6:7], s[8:9], 3
	s_add_u32 s6, s44, s6
	s_addc_u32 s7, s45, s7
	s_cmpk_eq_i32 s2, 0x6f
	s_cselect_b32 s9, s48, s50
	s_cselect_b32 s38, s49, s51
	s_load_dwordx2 s[36:37], s[6:7], 0x0
	v_cmp_lt_u64_e64 s[6:7], v[0:1], v[8:9]
	v_mul_lo_u32 v1, s38, v22
	v_mul_lo_u32 v4, s9, v23
	v_mad_u64_u32 v[2:3], s[38:39], s9, v22, 0
	v_add3_u32 v3, v3, v4, v1
	v_mad_u64_u32 v[4:5], s[38:39], s50, v20, 0
	v_mov_b32_e32 v6, v5
	v_mad_u64_u32 v[6:7], s[38:39], s51, v20, v[6:7]
	v_mov_b32_e32 v5, v6
	v_lshlrev_b64 v[2:3], 7, v[2:3]
	v_lshlrev_b64 v[4:5], 3, v[4:5]
	v_add_co_u32_e32 v1, vcc, v2, v4
	v_addc_co_u32_e32 v22, vcc, v3, v5, vcc
	v_mad_u64_u32 v[4:5], s[38:39], s48, v0, 0
	v_mov_b32_e32 v6, v5
	v_mad_u64_u32 v[6:7], s[38:39], s49, v0, v[6:7]
	v_mov_b32_e32 v5, v6
	v_lshlrev_b64 v[4:5], 3, v[4:5]
	s_lshl_b64 s[38:39], s[46:47], 3
	v_add_co_u32_e32 v1, vcc, v1, v4
	s_waitcnt lgkmcnt(0)
	s_add_u32 s9, s36, s38
	v_addc_co_u32_e32 v4, vcc, v22, v5, vcc
	s_addc_u32 s43, s37, s39
	v_mov_b32_e32 v5, s43
	v_add_co_u32_e32 v22, vcc, s9, v1
	v_addc_co_u32_e32 v23, vcc, v5, v4, vcc
	v_mad_u64_u32 v[4:5], s[38:39], s50, v18, 0
	v_mov_b32_e32 v6, v5
	v_mad_u64_u32 v[6:7], s[38:39], s51, v18, v[6:7]
	v_mov_b32_e32 v5, v6
	v_lshlrev_b64 v[4:5], 3, v[4:5]
	v_add_co_u32_e32 v1, vcc, v2, v4
	v_addc_co_u32_e32 v6, vcc, v3, v5, vcc
	v_mad_u64_u32 v[2:3], s[38:39], s48, v10, 0
	v_mov_b32_e32 v4, v3
	v_mad_u64_u32 v[4:5], s[38:39], s49, v10, v[4:5]
	v_mov_b32_e32 v3, v4
	v_lshlrev_b64 v[2:3], 3, v[2:3]
	v_add_co_u32_e32 v1, vcc, v1, v2
	v_addc_co_u32_e32 v2, vcc, v6, v3, vcc
	v_mov_b32_e32 v3, s43
	v_add_co_u32_e32 v24, vcc, s9, v1
	v_addc_co_u32_e32 v25, vcc, v3, v2, vcc
	v_mul_lo_u32 v1, s42, v26
	v_mul_lo_u32 v4, s33, v27
	v_mad_u64_u32 v[2:3], s[42:43], s33, v26, 0
	v_add3_u32 v3, v3, v4, v1
	v_mad_u64_u32 v[4:5], s[42:43], s18, v18, 0
	v_mov_b32_e32 v6, v5
	v_mad_u64_u32 v[6:7], s[42:43], s19, v18, v[6:7]
	v_mov_b32_e32 v5, v6
	v_lshlrev_b64 v[2:3], 7, v[2:3]
	v_lshlrev_b64 v[4:5], 3, v[4:5]
	s_mul_i32 s9, s21, s8
	s_mul_hi_u32 s21, s20, s8
	v_add_co_u32_e32 v1, vcc, v2, v4
	s_add_i32 s21, s21, s9
	s_mul_i32 s20, s20, s8
	v_addc_co_u32_e32 v4, vcc, v3, v5, vcc
	s_lshl_b64 s[20:21], s[20:21], 3
	v_mov_b32_e32 v28, s21
	v_add_co_u32_e32 v1, vcc, s20, v1
	v_addc_co_u32_e32 v26, vcc, v4, v28, vcc
	v_mad_u64_u32 v[4:5], s[42:43], s16, v10, 0
	v_mov_b32_e32 v6, v5
	v_mad_u64_u32 v[6:7], s[42:43], s17, v10, v[6:7]
	v_mov_b32_e32 v5, v6
	s_lshl_b64 s[36:37], s[50:51], 5
	s_lshl_b64 s[38:39], s[48:49], 5
	v_lshlrev_b64 v[4:5], 3, v[4:5]
	s_lshl_b64 s[14:15], s[14:15], 3
	v_add_co_u32_e32 v1, vcc, v1, v4
	s_add_u32 s9, s12, s14
	v_addc_co_u32_e32 v4, vcc, v26, v5, vcc
	s_addc_u32 s21, s13, s15
	v_mov_b32_e32 v5, s21
	v_add_co_u32_e32 v26, vcc, s9, v1
	v_addc_co_u32_e32 v27, vcc, v5, v4, vcc
	v_mad_u64_u32 v[4:5], s[14:15], s18, v20, 0
	v_mov_b32_e32 v6, v5
	v_mad_u64_u32 v[6:7], s[14:15], s19, v20, v[6:7]
	v_mov_b32_e32 v5, v6
	v_lshlrev_b64 v[4:5], 3, v[4:5]
	v_add_co_u32_e32 v1, vcc, v2, v4
	v_addc_co_u32_e32 v2, vcc, v3, v5, vcc
	v_add_co_u32_e32 v5, vcc, s20, v1
	v_addc_co_u32_e32 v6, vcc, v2, v28, vcc
	v_mad_u64_u32 v[2:3], s[14:15], s16, v0, 0
	v_mov_b32_e32 v4, v3
	v_lshl_or_b32 v30, v0, 2, v20
	v_mad_u64_u32 v[0:1], s[14:15], s17, v0, v[4:5]
	v_mov_b32_e32 v3, v0
	v_lshlrev_b64 v[0:1], 3, v[2:3]
	v_add_co_u32_e32 v0, vcc, v5, v0
	v_addc_co_u32_e32 v1, vcc, v6, v1, vcc
	v_mov_b32_e32 v2, s21
	v_add_co_u32_e32 v28, vcc, s9, v0
	v_addc_co_u32_e32 v29, vcc, v2, v1, vcc
	v_mbcnt_hi_u32_b32 v2, -1, v34
	v_pk_mov_b32 v[0:1], 0, 0
	v_and_or_b32 v2, v2, 64, v30
	v_cmp_lt_u64_e64 s[2:3], v[18:19], v[8:9]
	s_lshl_b64 s[12:13], s[16:17], 5
	s_lshl_b64 s[14:15], s[18:19], 5
	s_mov_b64 s[16:17], 0
	v_lshlrev_b32_e32 v35, 2, v2
	v_pk_mov_b32 v[2:3], v[0:1], v[0:1] op_sel:[0,1]
	v_pk_mov_b32 v[4:5], v[0:1], v[0:1] op_sel:[0,1]
	;; [unrolled: 1-line block ×3, first 2 shown]
	s_branch .LBB54_6
.LBB54_3:                               ;   in Loop: Header=BB54_6 Depth=1
	s_or_b64 exec, exec, s[20:21]
.LBB54_4:                               ;   in Loop: Header=BB54_6 Depth=1
	s_or_b64 exec, exec, s[18:19]
	s_waitcnt vmcnt(0)
	ds_bpermute_b32 v32, v35, v32
	ds_bpermute_b32 v33, v35, v33
.LBB54_5:                               ;   in Loop: Header=BB54_6 Depth=1
	v_mov_b32_e32 v36, s37
	v_add_co_u32_e32 v22, vcc, s36, v22
	v_addc_co_u32_e32 v23, vcc, v23, v36, vcc
	v_mov_b32_e32 v36, s39
	v_add_co_u32_e32 v24, vcc, s38, v24
	s_waitcnt vmcnt(0) lgkmcnt(0)
	v_mfma_f64_16x16x4f64 v[0:7], v[30:31], v[32:33], v[0:7]
	s_add_u32 s16, s16, 4
	s_addc_u32 s17, s17, 0
	v_addc_co_u32_e32 v25, vcc, v25, v36, vcc
	v_mov_b32_e32 v36, s13
	v_add_co_u32_e32 v26, vcc, s12, v26
	v_addc_co_u32_e32 v27, vcc, v27, v36, vcc
	v_mov_b32_e32 v30, s15
	v_add_co_u32_e32 v28, vcc, s14, v28
	v_addc_co_u32_e32 v29, vcc, v29, v30, vcc
	v_pk_mov_b32 v[30:31], s[40:41], s[40:41] op_sel:[0,1]
	v_cmp_ge_i64_e32 vcc, s[16:17], v[30:31]
	s_cbranch_vccnz .LBB54_28
.LBB54_6:                               ; =>This Inner Loop Header: Depth=1
	s_and_b64 vcc, exec, s[22:23]
	s_cbranch_vccz .LBB54_18
; %bb.7:                                ;   in Loop: Header=BB54_6 Depth=1
	v_pk_mov_b32 v[30:31], 0, 0
	s_and_saveexec_b64 s[18:19], s[2:3]
	s_cbranch_execz .LBB54_11
; %bb.8:                                ;   in Loop: Header=BB54_6 Depth=1
	v_mov_b32_e32 v31, s17
	v_add_co_u32_e32 v30, vcc, s16, v10
	v_addc_co_u32_e32 v31, vcc, 0, v31, vcc
	v_cmp_gt_i64_e32 vcc, s[40:41], v[30:31]
	v_pk_mov_b32 v[30:31], 0, 0
	s_and_saveexec_b64 s[20:21], vcc
	s_cbranch_execz .LBB54_10
; %bb.9:                                ;   in Loop: Header=BB54_6 Depth=1
	global_load_dwordx2 v[30:31], v[24:25], off
.LBB54_10:                              ;   in Loop: Header=BB54_6 Depth=1
	s_or_b64 exec, exec, s[20:21]
.LBB54_11:                              ;   in Loop: Header=BB54_6 Depth=1
	s_or_b64 exec, exec, s[18:19]
	s_waitcnt vmcnt(0)
	ds_bpermute_b32 v30, v35, v30
	ds_bpermute_b32 v31, v35, v31
.LBB54_12:                              ;   in Loop: Header=BB54_6 Depth=1
	s_and_b64 vcc, exec, s[34:35]
	s_cbranch_vccz .LBB54_24
.LBB54_13:                              ;   in Loop: Header=BB54_6 Depth=1
	v_pk_mov_b32 v[32:33], 0, 0
	s_and_saveexec_b64 s[18:19], s[10:11]
	s_cbranch_execz .LBB54_17
; %bb.14:                               ;   in Loop: Header=BB54_6 Depth=1
	v_mov_b32_e32 v33, s17
	v_add_co_u32_e32 v32, vcc, s16, v20
	v_addc_co_u32_e32 v33, vcc, 0, v33, vcc
	v_cmp_gt_i64_e32 vcc, s[40:41], v[32:33]
	v_pk_mov_b32 v[32:33], 0, 0
	s_and_saveexec_b64 s[20:21], vcc
	s_cbranch_execz .LBB54_16
; %bb.15:                               ;   in Loop: Header=BB54_6 Depth=1
	global_load_dwordx2 v[32:33], v[28:29], off
.LBB54_16:                              ;   in Loop: Header=BB54_6 Depth=1
	s_or_b64 exec, exec, s[20:21]
.LBB54_17:                              ;   in Loop: Header=BB54_6 Depth=1
	s_or_b64 exec, exec, s[18:19]
	s_cbranch_execnz .LBB54_5
	s_branch .LBB54_25
.LBB54_18:                              ;   in Loop: Header=BB54_6 Depth=1
                                        ; implicit-def: $vgpr30_vgpr31
	s_cbranch_execz .LBB54_12
; %bb.19:                               ;   in Loop: Header=BB54_6 Depth=1
	s_waitcnt lgkmcnt(0)
	v_pk_mov_b32 v[30:31], 0, 0
	s_and_saveexec_b64 s[18:19], s[6:7]
	s_cbranch_execz .LBB54_23
; %bb.20:                               ;   in Loop: Header=BB54_6 Depth=1
	v_mov_b32_e32 v31, s17
	v_add_co_u32_e32 v30, vcc, s16, v20
	v_addc_co_u32_e32 v31, vcc, 0, v31, vcc
	v_cmp_gt_i64_e32 vcc, s[40:41], v[30:31]
	v_pk_mov_b32 v[30:31], 0, 0
	s_and_saveexec_b64 s[20:21], vcc
	s_cbranch_execz .LBB54_22
; %bb.21:                               ;   in Loop: Header=BB54_6 Depth=1
	global_load_dwordx2 v[30:31], v[22:23], off
.LBB54_22:                              ;   in Loop: Header=BB54_6 Depth=1
	s_or_b64 exec, exec, s[20:21]
.LBB54_23:                              ;   in Loop: Header=BB54_6 Depth=1
	s_or_b64 exec, exec, s[18:19]
	s_and_b64 vcc, exec, s[34:35]
	s_cbranch_vccnz .LBB54_13
.LBB54_24:                              ;   in Loop: Header=BB54_6 Depth=1
                                        ; implicit-def: $vgpr32_vgpr33
.LBB54_25:                              ;   in Loop: Header=BB54_6 Depth=1
	s_waitcnt vmcnt(0)
	v_pk_mov_b32 v[32:33], 0, 0
	s_and_saveexec_b64 s[18:19], s[0:1]
	s_cbranch_execz .LBB54_4
; %bb.26:                               ;   in Loop: Header=BB54_6 Depth=1
	v_mov_b32_e32 v33, s17
	v_add_co_u32_e32 v32, vcc, s16, v10
	v_addc_co_u32_e32 v33, vcc, 0, v33, vcc
	v_cmp_gt_i64_e32 vcc, s[40:41], v[32:33]
	v_pk_mov_b32 v[32:33], 0, 0
	s_and_saveexec_b64 s[20:21], vcc
	s_cbranch_execz .LBB54_3
; %bb.27:                               ;   in Loop: Header=BB54_6 Depth=1
	global_load_dwordx2 v[32:33], v[26:27], off
	s_branch .LBB54_3
.LBB54_28:
	s_load_dwordx2 s[0:1], s[4:5], 0xa0
	s_load_dwordx4 s[12:15], s[4:5], 0x90
	s_waitcnt lgkmcnt(0)
	s_mul_i32 s1, s8, s1
	s_mul_hi_u32 s2, s8, s0
	s_mul_i32 s0, s8, s0
	s_add_i32 s1, s2, s1
	s_lshl_b64 s[0:1], s[0:1], 3
	s_add_u32 s2, s24, s0
	s_addc_u32 s3, s25, s1
	s_lshl_b64 s[0:1], s[26:27], 3
	s_add_u32 s2, s2, s0
	s_addc_u32 s3, s3, s1
	v_mul_lo_u32 v20, v15, s14
	v_mul_lo_u32 v22, v14, s15
	v_mad_u64_u32 v[14:15], s[0:1], v14, s14, 0
	v_add3_u32 v15, v15, v22, v20
	v_mul_lo_u32 v20, v13, s12
	v_mul_lo_u32 v22, v12, s13
	v_mad_u64_u32 v[12:13], s[0:1], v12, s12, 0
	v_lshlrev_b64 v[14:15], 3, v[14:15]
	v_add3_u32 v13, v13, v22, v20
	v_mov_b32_e32 v20, s3
	v_add_co_u32_e32 v14, vcc, s2, v14
	v_addc_co_u32_e32 v15, vcc, v20, v15, vcc
	v_lshlrev_b64 v[12:13], 3, v[12:13]
	v_add_co_u32_e32 v20, vcc, v14, v12
	v_lshl_or_b32 v12, v21, 4, v18
	v_addc_co_u32_e32 v15, vcc, v15, v13, vcc
	v_mbcnt_hi_u32_b32 v13, -1, v34
	v_and_b32_e32 v12, 63, v12
	v_and_or_b32 v12, v13, 64, v12
	v_lshlrev_b32_e32 v14, 2, v12
	v_mad_u64_u32 v[12:13], s[0:1], v18, s14, 0
	v_cmp_lt_u64_e32 vcc, v[18:19], v[16:17]
	v_mov_b32_e32 v16, v13
	v_mad_u64_u32 v[16:17], s[0:1], v18, s15, v[16:17]
	v_mov_b32_e32 v13, v16
	v_lshlrev_b64 v[12:13], 3, v[12:13]
	ds_bpermute_b32 v0, v14, v0
	ds_bpermute_b32 v1, v14, v1
	v_add_co_u32_e64 v12, s[0:1], v20, v12
	v_addc_co_u32_e64 v13, s[0:1], v15, v13, s[0:1]
	v_cmp_lt_u64_e64 s[0:1], v[10:11], v[8:9]
	s_and_b64 s[0:1], vcc, s[0:1]
	s_and_saveexec_b64 s[2:3], s[0:1]
	s_cbranch_execz .LBB54_30
; %bb.29:
	v_mad_u64_u32 v[16:17], s[0:1], v10, s12, 0
	v_mov_b32_e32 v18, v17
	v_mad_u64_u32 v[18:19], s[0:1], v10, s13, v[18:19]
	v_mov_b32_e32 v17, v18
	v_lshlrev_b64 v[16:17], 3, v[16:17]
	v_add_co_u32_e64 v16, s[0:1], v12, v16
	v_addc_co_u32_e64 v17, s[0:1], v13, v17, s[0:1]
	global_load_dwordx2 v[18:19], v[16:17], off
	s_waitcnt vmcnt(0)
	v_mul_f64 v[18:19], s[30:31], v[18:19]
	s_waitcnt lgkmcnt(0)
	v_fmac_f64_e32 v[18:19], s[28:29], v[0:1]
	global_store_dwordx2 v[16:17], v[18:19], off
.LBB54_30:
	s_or_b64 exec, exec, s[2:3]
	s_waitcnt lgkmcnt(1)
	ds_bpermute_b32 v0, v14, v2
	s_waitcnt lgkmcnt(1)
	ds_bpermute_b32 v1, v14, v3
	v_or_b32_e32 v2, 4, v10
	v_mov_b32_e32 v3, v11
	v_cmp_lt_u64_e64 s[0:1], v[2:3], v[8:9]
	s_and_b64 s[0:1], vcc, s[0:1]
	s_and_saveexec_b64 s[2:3], s[0:1]
	s_cbranch_execz .LBB54_32
; %bb.31:
	v_mad_u64_u32 v[16:17], s[0:1], v2, s12, 0
	v_mov_b32_e32 v18, v17
	v_mad_u64_u32 v[2:3], s[0:1], v2, s13, v[18:19]
	v_mov_b32_e32 v17, v2
	v_lshlrev_b64 v[2:3], 3, v[16:17]
	v_add_co_u32_e64 v2, s[0:1], v12, v2
	v_addc_co_u32_e64 v3, s[0:1], v13, v3, s[0:1]
	global_load_dwordx2 v[16:17], v[2:3], off
	s_waitcnt vmcnt(0)
	v_mul_f64 v[16:17], s[30:31], v[16:17]
	s_waitcnt lgkmcnt(0)
	v_fmac_f64_e32 v[16:17], s[28:29], v[0:1]
	global_store_dwordx2 v[2:3], v[16:17], off
.LBB54_32:
	s_or_b64 exec, exec, s[2:3]
	s_waitcnt lgkmcnt(1)
	ds_bpermute_b32 v0, v14, v4
	s_waitcnt lgkmcnt(1)
	ds_bpermute_b32 v1, v14, v5
	v_or_b32_e32 v2, 8, v10
	v_mov_b32_e32 v3, v11
	v_cmp_lt_u64_e64 s[0:1], v[2:3], v[8:9]
	s_and_b64 s[0:1], vcc, s[0:1]
	s_and_saveexec_b64 s[2:3], s[0:1]
	s_cbranch_execz .LBB54_34
; %bb.33:
	v_mad_u64_u32 v[4:5], s[0:1], v2, s12, 0
	v_mov_b32_e32 v16, v5
	v_mad_u64_u32 v[2:3], s[0:1], v2, s13, v[16:17]
	v_mov_b32_e32 v5, v2
	v_lshlrev_b64 v[2:3], 3, v[4:5]
	v_add_co_u32_e64 v2, s[0:1], v12, v2
	v_addc_co_u32_e64 v3, s[0:1], v13, v3, s[0:1]
	global_load_dwordx2 v[4:5], v[2:3], off
	s_waitcnt vmcnt(0)
	v_mul_f64 v[4:5], s[30:31], v[4:5]
	s_waitcnt lgkmcnt(0)
	v_fmac_f64_e32 v[4:5], s[28:29], v[0:1]
	global_store_dwordx2 v[2:3], v[4:5], off
.LBB54_34:
	s_or_b64 exec, exec, s[2:3]
	s_waitcnt lgkmcnt(1)
	ds_bpermute_b32 v0, v14, v6
	s_waitcnt lgkmcnt(1)
	ds_bpermute_b32 v1, v14, v7
	v_or_b32_e32 v10, 12, v10
	v_cmp_lt_u64_e64 s[0:1], v[10:11], v[8:9]
	s_and_b64 s[0:1], vcc, s[0:1]
	s_and_b64 exec, exec, s[0:1]
	s_cbranch_execz .LBB54_36
; %bb.35:
	v_mad_u64_u32 v[2:3], s[0:1], v10, s12, 0
	v_mov_b32_e32 v4, v3
	v_mad_u64_u32 v[4:5], s[0:1], v10, s13, v[4:5]
	v_mov_b32_e32 v3, v4
	v_lshlrev_b64 v[2:3], 3, v[2:3]
	v_add_co_u32_e32 v2, vcc, v12, v2
	v_addc_co_u32_e32 v3, vcc, v13, v3, vcc
	global_load_dwordx2 v[4:5], v[2:3], off
	s_waitcnt vmcnt(0)
	v_mul_f64 v[4:5], s[30:31], v[4:5]
	s_waitcnt lgkmcnt(0)
	v_fmac_f64_e32 v[4:5], s[28:29], v[0:1]
	global_store_dwordx2 v[2:3], v[4:5], off
.LBB54_36:
	s_endpgm
	.section	.rodata,"a",@progbits
	.p2align	6, 0x0
	.amdhsa_kernel _ZN9rocsolver6v33100L16mfma_gemm_kernelIdlPKdPKPdS4_S4_EEv18rocblas_operation_S7_T0_S8_S8_T1_T2_lS8_S8_lT3_lS8_S8_lS9_T4_lS8_S8_l
		.amdhsa_group_segment_fixed_size 0
		.amdhsa_private_segment_fixed_size 0
		.amdhsa_kernarg_size 424
		.amdhsa_user_sgpr_count 6
		.amdhsa_user_sgpr_private_segment_buffer 1
		.amdhsa_user_sgpr_dispatch_ptr 0
		.amdhsa_user_sgpr_queue_ptr 0
		.amdhsa_user_sgpr_kernarg_segment_ptr 1
		.amdhsa_user_sgpr_dispatch_id 0
		.amdhsa_user_sgpr_flat_scratch_init 0
		.amdhsa_user_sgpr_kernarg_preload_length 0
		.amdhsa_user_sgpr_kernarg_preload_offset 0
		.amdhsa_user_sgpr_private_segment_size 0
		.amdhsa_uses_dynamic_stack 0
		.amdhsa_system_sgpr_private_segment_wavefront_offset 0
		.amdhsa_system_sgpr_workgroup_id_x 1
		.amdhsa_system_sgpr_workgroup_id_y 1
		.amdhsa_system_sgpr_workgroup_id_z 1
		.amdhsa_system_sgpr_workgroup_info 0
		.amdhsa_system_vgpr_workitem_id 1
		.amdhsa_next_free_vgpr 37
		.amdhsa_next_free_sgpr 52
		.amdhsa_accum_offset 40
		.amdhsa_reserve_vcc 1
		.amdhsa_reserve_flat_scratch 0
		.amdhsa_float_round_mode_32 0
		.amdhsa_float_round_mode_16_64 0
		.amdhsa_float_denorm_mode_32 3
		.amdhsa_float_denorm_mode_16_64 3
		.amdhsa_dx10_clamp 1
		.amdhsa_ieee_mode 1
		.amdhsa_fp16_overflow 0
		.amdhsa_tg_split 0
		.amdhsa_exception_fp_ieee_invalid_op 0
		.amdhsa_exception_fp_denorm_src 0
		.amdhsa_exception_fp_ieee_div_zero 0
		.amdhsa_exception_fp_ieee_overflow 0
		.amdhsa_exception_fp_ieee_underflow 0
		.amdhsa_exception_fp_ieee_inexact 0
		.amdhsa_exception_int_div_zero 0
	.end_amdhsa_kernel
	.section	.text._ZN9rocsolver6v33100L16mfma_gemm_kernelIdlPKdPKPdS4_S4_EEv18rocblas_operation_S7_T0_S8_S8_T1_T2_lS8_S8_lT3_lS8_S8_lS9_T4_lS8_S8_l,"axG",@progbits,_ZN9rocsolver6v33100L16mfma_gemm_kernelIdlPKdPKPdS4_S4_EEv18rocblas_operation_S7_T0_S8_S8_T1_T2_lS8_S8_lT3_lS8_S8_lS9_T4_lS8_S8_l,comdat
.Lfunc_end54:
	.size	_ZN9rocsolver6v33100L16mfma_gemm_kernelIdlPKdPKPdS4_S4_EEv18rocblas_operation_S7_T0_S8_S8_T1_T2_lS8_S8_lT3_lS8_S8_lS9_T4_lS8_S8_l, .Lfunc_end54-_ZN9rocsolver6v33100L16mfma_gemm_kernelIdlPKdPKPdS4_S4_EEv18rocblas_operation_S7_T0_S8_S8_T1_T2_lS8_S8_lT3_lS8_S8_lS9_T4_lS8_S8_l
                                        ; -- End function
	.section	.AMDGPU.csdata,"",@progbits
; Kernel info:
; codeLenInByte = 2208
; NumSgprs: 56
; NumVgprs: 37
; NumAgprs: 0
; TotalNumVgprs: 37
; ScratchSize: 0
; MemoryBound: 0
; FloatMode: 240
; IeeeMode: 1
; LDSByteSize: 0 bytes/workgroup (compile time only)
; SGPRBlocks: 6
; VGPRBlocks: 4
; NumSGPRsForWavesPerEU: 56
; NumVGPRsForWavesPerEU: 37
; AccumOffset: 40
; Occupancy: 8
; WaveLimiterHint : 0
; COMPUTE_PGM_RSRC2:SCRATCH_EN: 0
; COMPUTE_PGM_RSRC2:USER_SGPR: 6
; COMPUTE_PGM_RSRC2:TRAP_HANDLER: 0
; COMPUTE_PGM_RSRC2:TGID_X_EN: 1
; COMPUTE_PGM_RSRC2:TGID_Y_EN: 1
; COMPUTE_PGM_RSRC2:TGID_Z_EN: 1
; COMPUTE_PGM_RSRC2:TIDIG_COMP_CNT: 1
; COMPUTE_PGM_RSRC3_GFX90A:ACCUM_OFFSET: 9
; COMPUTE_PGM_RSRC3_GFX90A:TG_SPLIT: 0
	.section	.text._ZN9rocsolver6v33100L16mfma_gemm_kernelIdldPKPdS2_S2_EEv18rocblas_operation_S5_T0_S6_S6_T1_T2_lS6_S6_lT3_lS6_S6_lS7_T4_lS6_S6_l,"axG",@progbits,_ZN9rocsolver6v33100L16mfma_gemm_kernelIdldPKPdS2_S2_EEv18rocblas_operation_S5_T0_S6_S6_T1_T2_lS6_S6_lT3_lS6_S6_lS7_T4_lS6_S6_l,comdat
	.globl	_ZN9rocsolver6v33100L16mfma_gemm_kernelIdldPKPdS2_S2_EEv18rocblas_operation_S5_T0_S6_S6_T1_T2_lS6_S6_lT3_lS6_S6_lS7_T4_lS6_S6_l ; -- Begin function _ZN9rocsolver6v33100L16mfma_gemm_kernelIdldPKPdS2_S2_EEv18rocblas_operation_S5_T0_S6_S6_T1_T2_lS6_S6_lT3_lS6_S6_lS7_T4_lS6_S6_l
	.p2align	8
	.type	_ZN9rocsolver6v33100L16mfma_gemm_kernelIdldPKPdS2_S2_EEv18rocblas_operation_S5_T0_S6_S6_T1_T2_lS6_S6_lT3_lS6_S6_lS7_T4_lS6_S6_l,@function
_ZN9rocsolver6v33100L16mfma_gemm_kernelIdldPKPdS2_S2_EEv18rocblas_operation_S5_T0_S6_S6_T1_T2_lS6_S6_lT3_lS6_S6_lS7_T4_lS6_S6_l: ; @_ZN9rocsolver6v33100L16mfma_gemm_kernelIdldPKPdS2_S2_EEv18rocblas_operation_S5_T0_S6_S6_T1_T2_lS6_S6_lT3_lS6_S6_lS7_T4_lS6_S6_l
; %bb.0:
	s_load_dword s0, s[4:5], 0xb4
	s_load_dwordx16 s[12:27], s[4:5], 0x8
	v_and_b32_e32 v1, 0x3ff, v0
	v_lshrrev_b32_e32 v8, 6, v1
	v_mov_b32_e32 v9, 0
	s_waitcnt lgkmcnt(0)
	s_lshr_b32 s2, s0, 16
	s_bfe_u32 s0, s0, 0xa0006
	v_bfe_u32 v2, v0, 10, 10
	v_mov_b32_e32 v0, s6
	v_mov_b32_e32 v3, v9
	v_mad_u64_u32 v[22:23], s[0:1], s0, v0, v[8:9]
	v_mov_b32_e32 v0, s7
	v_mad_u64_u32 v[26:27], s[0:1], s2, v0, v[2:3]
	v_lshlrev_b64 v[12:13], 4, v[22:23]
	v_lshlrev_b64 v[14:15], 4, v[26:27]
	v_cmp_gt_i64_e32 vcc, s[12:13], v[12:13]
	v_cmp_gt_i64_e64 s[0:1], s[14:15], v[14:15]
	s_and_b64 s[0:1], vcc, s[0:1]
	s_and_saveexec_b64 s[2:3], s[0:1]
	s_cbranch_execz .LBB55_36
; %bb.1:
	v_add_co_u32_e32 v2, vcc, 16, v12
	v_addc_co_u32_e32 v3, vcc, 0, v13, vcc
	s_and_b32 s0, s12, 15
	v_mov_b32_e32 v0, s0
	v_cmp_lt_u64_e32 vcc, s[12:13], v[2:3]
	s_load_dwordx16 s[36:51], s[4:5], 0x50
	v_cndmask_b32_e32 v8, 16, v0, vcc
	v_add_co_u32_e32 v2, vcc, 16, v14
	v_addc_co_u32_e32 v3, vcc, 0, v15, vcc
	s_and_b32 s0, s14, 15
	v_mov_b32_e32 v0, s0
	v_cmp_lt_u64_e32 vcc, s[14:15], v[2:3]
	v_cndmask_b32_e32 v16, 16, v0, vcc
	v_mov_b32_e32 v17, v9
	v_bfe_u32 v18, v1, 2, 4
	v_mov_b32_e32 v19, v9
	v_cmp_lt_i64_e64 s[0:1], s[16:17], 1
	v_pk_mov_b32 v[6:7], 0, 0
	s_mov_b32 s9, 0
	v_and_b32_e32 v21, 63, v1
	v_and_b32_e32 v10, 3, v1
	v_mov_b32_e32 v11, v9
	s_and_b64 vcc, exec, s[0:1]
	v_cmp_lt_u64_e64 s[0:1], v[18:19], v[16:17]
	v_mbcnt_lo_u32_b32 v34, -1, 0
	v_pk_mov_b32 v[4:5], v[6:7], v[6:7] op_sel:[0,1]
	v_pk_mov_b32 v[2:3], v[6:7], v[6:7] op_sel:[0,1]
	;; [unrolled: 1-line block ×3, first 2 shown]
	s_cbranch_vccnz .LBB55_28
; %bb.2:
	s_load_dwordx2 s[2:3], s[4:5], 0x0
	v_mov_b32_e32 v1, 0
	v_and_b32_e32 v0, 15, v21
	v_lshrrev_b32_e32 v20, 4, v21
	v_cmp_lt_u64_e64 s[10:11], v[0:1], v[16:17]
	s_waitcnt lgkmcnt(0)
	s_cmpk_lg_i32 s2, 0x6f
	s_cselect_b64 s[12:13], -1, 0
	s_cmpk_lg_i32 s3, 0x6f
	s_cselect_b64 s[14:15], -1, 0
	s_cmpk_eq_i32 s3, 0x6f
	s_cselect_b32 s30, s42, s40
	s_cselect_b32 s31, s43, s41
	s_lshl_b64 s[6:7], s[8:9], 3
	s_add_u32 s6, s20, s6
	s_addc_u32 s7, s21, s7
	s_cmpk_eq_i32 s2, 0x6f
	s_cselect_b32 s9, s24, s26
	s_cselect_b32 s28, s25, s27
	s_load_dwordx2 s[20:21], s[6:7], 0x0
	v_cmp_lt_u64_e64 s[6:7], v[0:1], v[8:9]
	v_mul_lo_u32 v1, s28, v22
	v_mul_lo_u32 v4, s9, v23
	v_mad_u64_u32 v[2:3], s[28:29], s9, v22, 0
	v_add3_u32 v3, v3, v4, v1
	v_mad_u64_u32 v[4:5], s[28:29], s26, v20, 0
	v_mov_b32_e32 v6, v5
	v_mad_u64_u32 v[6:7], s[28:29], s27, v20, v[6:7]
	v_mov_b32_e32 v5, v6
	v_lshlrev_b64 v[2:3], 7, v[2:3]
	v_lshlrev_b64 v[4:5], 3, v[4:5]
	v_add_co_u32_e32 v1, vcc, v2, v4
	v_addc_co_u32_e32 v22, vcc, v3, v5, vcc
	v_mad_u64_u32 v[4:5], s[28:29], s24, v0, 0
	v_mov_b32_e32 v6, v5
	v_mad_u64_u32 v[6:7], s[28:29], s25, v0, v[6:7]
	v_mov_b32_e32 v5, v6
	v_lshlrev_b64 v[4:5], 3, v[4:5]
	s_lshl_b64 s[22:23], s[22:23], 3
	v_add_co_u32_e32 v1, vcc, v1, v4
	s_waitcnt lgkmcnt(0)
	s_add_u32 s9, s20, s22
	v_addc_co_u32_e32 v4, vcc, v22, v5, vcc
	s_addc_u32 s28, s21, s23
	v_mov_b32_e32 v5, s28
	v_add_co_u32_e32 v22, vcc, s9, v1
	v_addc_co_u32_e32 v23, vcc, v5, v4, vcc
	v_mad_u64_u32 v[4:5], s[22:23], s26, v18, 0
	v_mov_b32_e32 v6, v5
	v_mad_u64_u32 v[6:7], s[22:23], s27, v18, v[6:7]
	v_mov_b32_e32 v5, v6
	v_lshlrev_b64 v[4:5], 3, v[4:5]
	v_add_co_u32_e32 v1, vcc, v2, v4
	v_addc_co_u32_e32 v6, vcc, v3, v5, vcc
	v_mad_u64_u32 v[2:3], s[22:23], s24, v10, 0
	v_mov_b32_e32 v4, v3
	v_mad_u64_u32 v[4:5], s[22:23], s25, v10, v[4:5]
	v_mov_b32_e32 v3, v4
	v_lshlrev_b64 v[2:3], 3, v[2:3]
	v_add_co_u32_e32 v1, vcc, v1, v2
	v_addc_co_u32_e32 v2, vcc, v6, v3, vcc
	v_mov_b32_e32 v3, s28
	v_add_co_u32_e32 v24, vcc, s9, v1
	v_addc_co_u32_e32 v25, vcc, v3, v2, vcc
	s_lshl_b64 s[22:23], s[24:25], 5
	v_mul_lo_u32 v1, s31, v26
	v_mul_lo_u32 v4, s30, v27
	v_mad_u64_u32 v[2:3], s[24:25], s30, v26, 0
	v_add3_u32 v3, v3, v4, v1
	v_mad_u64_u32 v[4:5], s[24:25], s42, v18, 0
	v_mov_b32_e32 v6, v5
	v_mad_u64_u32 v[6:7], s[24:25], s43, v18, v[6:7]
	v_mov_b32_e32 v5, v6
	v_lshlrev_b64 v[2:3], 7, v[2:3]
	v_lshlrev_b64 v[4:5], 3, v[4:5]
	s_mul_i32 s9, s45, s8
	s_mul_hi_u32 s24, s44, s8
	v_add_co_u32_e32 v1, vcc, v2, v4
	s_add_i32 s25, s24, s9
	s_mul_i32 s24, s44, s8
	s_lshl_b64 s[20:21], s[26:27], 5
	v_addc_co_u32_e32 v4, vcc, v3, v5, vcc
	s_lshl_b64 s[26:27], s[24:25], 3
	v_mov_b32_e32 v28, s27
	v_add_co_u32_e32 v1, vcc, s26, v1
	v_addc_co_u32_e32 v26, vcc, v4, v28, vcc
	v_mad_u64_u32 v[4:5], s[24:25], s40, v10, 0
	v_mov_b32_e32 v6, v5
	v_mad_u64_u32 v[6:7], s[24:25], s41, v10, v[6:7]
	v_mov_b32_e32 v5, v6
	v_lshlrev_b64 v[4:5], 3, v[4:5]
	s_lshl_b64 s[24:25], s[38:39], 3
	v_add_co_u32_e32 v1, vcc, v1, v4
	s_add_u32 s9, s36, s24
	v_addc_co_u32_e32 v4, vcc, v26, v5, vcc
	s_addc_u32 s30, s37, s25
	v_mov_b32_e32 v5, s30
	v_add_co_u32_e32 v26, vcc, s9, v1
	v_addc_co_u32_e32 v27, vcc, v5, v4, vcc
	v_mad_u64_u32 v[4:5], s[28:29], s42, v20, 0
	v_mov_b32_e32 v6, v5
	v_mad_u64_u32 v[6:7], s[28:29], s43, v20, v[6:7]
	v_mov_b32_e32 v5, v6
	v_lshlrev_b64 v[4:5], 3, v[4:5]
	v_add_co_u32_e32 v1, vcc, v2, v4
	v_addc_co_u32_e32 v2, vcc, v3, v5, vcc
	v_add_co_u32_e32 v5, vcc, s26, v1
	v_addc_co_u32_e32 v6, vcc, v2, v28, vcc
	v_mad_u64_u32 v[2:3], s[26:27], s40, v0, 0
	v_mov_b32_e32 v4, v3
	v_lshl_or_b32 v30, v0, 2, v20
	v_mad_u64_u32 v[0:1], s[26:27], s41, v0, v[4:5]
	v_mov_b32_e32 v3, v0
	v_lshlrev_b64 v[0:1], 3, v[2:3]
	v_add_co_u32_e32 v0, vcc, v5, v0
	v_addc_co_u32_e32 v1, vcc, v6, v1, vcc
	v_mov_b32_e32 v2, s30
	v_add_co_u32_e32 v28, vcc, s9, v0
	v_addc_co_u32_e32 v29, vcc, v2, v1, vcc
	v_mbcnt_hi_u32_b32 v2, -1, v34
	v_pk_mov_b32 v[0:1], 0, 0
	v_and_or_b32 v2, v2, 64, v30
	v_cmp_lt_u64_e64 s[2:3], v[18:19], v[8:9]
	s_lshl_b64 s[24:25], s[40:41], 5
	s_lshl_b64 s[26:27], s[42:43], 5
	s_mov_b64 s[28:29], 0
	v_lshlrev_b32_e32 v35, 2, v2
	v_pk_mov_b32 v[2:3], v[0:1], v[0:1] op_sel:[0,1]
	v_pk_mov_b32 v[4:5], v[0:1], v[0:1] op_sel:[0,1]
	;; [unrolled: 1-line block ×3, first 2 shown]
	s_branch .LBB55_6
.LBB55_3:                               ;   in Loop: Header=BB55_6 Depth=1
	s_or_b64 exec, exec, s[34:35]
.LBB55_4:                               ;   in Loop: Header=BB55_6 Depth=1
	s_or_b64 exec, exec, s[30:31]
	s_waitcnt vmcnt(0)
	ds_bpermute_b32 v32, v35, v32
	ds_bpermute_b32 v33, v35, v33
.LBB55_5:                               ;   in Loop: Header=BB55_6 Depth=1
	v_mov_b32_e32 v36, s21
	v_add_co_u32_e32 v22, vcc, s20, v22
	v_addc_co_u32_e32 v23, vcc, v23, v36, vcc
	v_mov_b32_e32 v36, s23
	v_add_co_u32_e32 v24, vcc, s22, v24
	s_waitcnt vmcnt(0) lgkmcnt(0)
	v_mfma_f64_16x16x4f64 v[0:7], v[30:31], v[32:33], v[0:7]
	s_add_u32 s28, s28, 4
	s_addc_u32 s29, s29, 0
	v_addc_co_u32_e32 v25, vcc, v25, v36, vcc
	v_mov_b32_e32 v36, s25
	v_add_co_u32_e32 v26, vcc, s24, v26
	v_addc_co_u32_e32 v27, vcc, v27, v36, vcc
	v_mov_b32_e32 v30, s27
	v_add_co_u32_e32 v28, vcc, s26, v28
	v_addc_co_u32_e32 v29, vcc, v29, v30, vcc
	v_pk_mov_b32 v[30:31], s[16:17], s[16:17] op_sel:[0,1]
	v_cmp_ge_i64_e32 vcc, s[28:29], v[30:31]
	s_cbranch_vccnz .LBB55_28
.LBB55_6:                               ; =>This Inner Loop Header: Depth=1
	s_and_b64 vcc, exec, s[12:13]
	s_cbranch_vccz .LBB55_18
; %bb.7:                                ;   in Loop: Header=BB55_6 Depth=1
	v_pk_mov_b32 v[30:31], 0, 0
	s_and_saveexec_b64 s[30:31], s[2:3]
	s_cbranch_execz .LBB55_11
; %bb.8:                                ;   in Loop: Header=BB55_6 Depth=1
	v_mov_b32_e32 v31, s29
	v_add_co_u32_e32 v30, vcc, s28, v10
	v_addc_co_u32_e32 v31, vcc, 0, v31, vcc
	v_cmp_gt_i64_e32 vcc, s[16:17], v[30:31]
	v_pk_mov_b32 v[30:31], 0, 0
	s_and_saveexec_b64 s[34:35], vcc
	s_cbranch_execz .LBB55_10
; %bb.9:                                ;   in Loop: Header=BB55_6 Depth=1
	global_load_dwordx2 v[30:31], v[24:25], off
.LBB55_10:                              ;   in Loop: Header=BB55_6 Depth=1
	s_or_b64 exec, exec, s[34:35]
.LBB55_11:                              ;   in Loop: Header=BB55_6 Depth=1
	s_or_b64 exec, exec, s[30:31]
	s_waitcnt vmcnt(0)
	ds_bpermute_b32 v30, v35, v30
	ds_bpermute_b32 v31, v35, v31
.LBB55_12:                              ;   in Loop: Header=BB55_6 Depth=1
	s_and_b64 vcc, exec, s[14:15]
	s_cbranch_vccz .LBB55_24
.LBB55_13:                              ;   in Loop: Header=BB55_6 Depth=1
	v_pk_mov_b32 v[32:33], 0, 0
	s_and_saveexec_b64 s[30:31], s[10:11]
	s_cbranch_execz .LBB55_17
; %bb.14:                               ;   in Loop: Header=BB55_6 Depth=1
	v_mov_b32_e32 v33, s29
	v_add_co_u32_e32 v32, vcc, s28, v20
	v_addc_co_u32_e32 v33, vcc, 0, v33, vcc
	v_cmp_gt_i64_e32 vcc, s[16:17], v[32:33]
	v_pk_mov_b32 v[32:33], 0, 0
	s_and_saveexec_b64 s[34:35], vcc
	s_cbranch_execz .LBB55_16
; %bb.15:                               ;   in Loop: Header=BB55_6 Depth=1
	global_load_dwordx2 v[32:33], v[28:29], off
.LBB55_16:                              ;   in Loop: Header=BB55_6 Depth=1
	s_or_b64 exec, exec, s[34:35]
.LBB55_17:                              ;   in Loop: Header=BB55_6 Depth=1
	s_or_b64 exec, exec, s[30:31]
	s_cbranch_execnz .LBB55_5
	s_branch .LBB55_25
.LBB55_18:                              ;   in Loop: Header=BB55_6 Depth=1
                                        ; implicit-def: $vgpr30_vgpr31
	s_cbranch_execz .LBB55_12
; %bb.19:                               ;   in Loop: Header=BB55_6 Depth=1
	s_waitcnt lgkmcnt(0)
	v_pk_mov_b32 v[30:31], 0, 0
	s_and_saveexec_b64 s[30:31], s[6:7]
	s_cbranch_execz .LBB55_23
; %bb.20:                               ;   in Loop: Header=BB55_6 Depth=1
	v_mov_b32_e32 v31, s29
	v_add_co_u32_e32 v30, vcc, s28, v20
	v_addc_co_u32_e32 v31, vcc, 0, v31, vcc
	v_cmp_gt_i64_e32 vcc, s[16:17], v[30:31]
	v_pk_mov_b32 v[30:31], 0, 0
	s_and_saveexec_b64 s[34:35], vcc
	s_cbranch_execz .LBB55_22
; %bb.21:                               ;   in Loop: Header=BB55_6 Depth=1
	global_load_dwordx2 v[30:31], v[22:23], off
.LBB55_22:                              ;   in Loop: Header=BB55_6 Depth=1
	s_or_b64 exec, exec, s[34:35]
.LBB55_23:                              ;   in Loop: Header=BB55_6 Depth=1
	s_or_b64 exec, exec, s[30:31]
	s_and_b64 vcc, exec, s[14:15]
	s_cbranch_vccnz .LBB55_13
.LBB55_24:                              ;   in Loop: Header=BB55_6 Depth=1
                                        ; implicit-def: $vgpr32_vgpr33
.LBB55_25:                              ;   in Loop: Header=BB55_6 Depth=1
	s_waitcnt vmcnt(0)
	v_pk_mov_b32 v[32:33], 0, 0
	s_and_saveexec_b64 s[30:31], s[0:1]
	s_cbranch_execz .LBB55_4
; %bb.26:                               ;   in Loop: Header=BB55_6 Depth=1
	v_mov_b32_e32 v33, s29
	v_add_co_u32_e32 v32, vcc, s28, v10
	v_addc_co_u32_e32 v33, vcc, 0, v33, vcc
	v_cmp_gt_i64_e32 vcc, s[16:17], v[32:33]
	v_pk_mov_b32 v[32:33], 0, 0
	s_and_saveexec_b64 s[34:35], vcc
	s_cbranch_execz .LBB55_3
; %bb.27:                               ;   in Loop: Header=BB55_6 Depth=1
	global_load_dwordx2 v[32:33], v[26:27], off
	s_branch .LBB55_3
.LBB55_28:
	s_load_dwordx2 s[0:1], s[4:5], 0xa0
	s_load_dwordx4 s[12:15], s[4:5], 0x90
	s_waitcnt lgkmcnt(0)
	s_mul_i32 s1, s8, s1
	s_mul_hi_u32 s2, s8, s0
	s_mul_i32 s0, s8, s0
	s_add_i32 s1, s2, s1
	s_lshl_b64 s[0:1], s[0:1], 3
	s_add_u32 s2, s48, s0
	s_addc_u32 s3, s49, s1
	s_lshl_b64 s[0:1], s[50:51], 3
	s_add_u32 s2, s2, s0
	s_addc_u32 s3, s3, s1
	v_mul_lo_u32 v20, v15, s14
	v_mul_lo_u32 v22, v14, s15
	v_mad_u64_u32 v[14:15], s[0:1], v14, s14, 0
	v_add3_u32 v15, v15, v22, v20
	v_mul_lo_u32 v20, v13, s12
	v_mul_lo_u32 v22, v12, s13
	v_mad_u64_u32 v[12:13], s[0:1], v12, s12, 0
	v_lshlrev_b64 v[14:15], 3, v[14:15]
	v_add3_u32 v13, v13, v22, v20
	v_mov_b32_e32 v20, s3
	v_add_co_u32_e32 v14, vcc, s2, v14
	v_addc_co_u32_e32 v15, vcc, v20, v15, vcc
	v_lshlrev_b64 v[12:13], 3, v[12:13]
	v_add_co_u32_e32 v20, vcc, v14, v12
	v_lshl_or_b32 v12, v21, 4, v18
	v_addc_co_u32_e32 v15, vcc, v15, v13, vcc
	v_mbcnt_hi_u32_b32 v13, -1, v34
	v_and_b32_e32 v12, 63, v12
	v_and_or_b32 v12, v13, 64, v12
	v_lshlrev_b32_e32 v14, 2, v12
	v_mad_u64_u32 v[12:13], s[0:1], v18, s14, 0
	v_cmp_lt_u64_e32 vcc, v[18:19], v[16:17]
	v_mov_b32_e32 v16, v13
	v_mad_u64_u32 v[16:17], s[0:1], v18, s15, v[16:17]
	v_mov_b32_e32 v13, v16
	v_lshlrev_b64 v[12:13], 3, v[12:13]
	ds_bpermute_b32 v0, v14, v0
	ds_bpermute_b32 v1, v14, v1
	v_add_co_u32_e64 v12, s[0:1], v20, v12
	v_addc_co_u32_e64 v13, s[0:1], v15, v13, s[0:1]
	v_cmp_lt_u64_e64 s[0:1], v[10:11], v[8:9]
	s_and_b64 s[0:1], vcc, s[0:1]
	s_and_saveexec_b64 s[2:3], s[0:1]
	s_cbranch_execz .LBB55_30
; %bb.29:
	v_mad_u64_u32 v[16:17], s[0:1], v10, s12, 0
	v_mov_b32_e32 v18, v17
	v_mad_u64_u32 v[18:19], s[0:1], v10, s13, v[18:19]
	v_mov_b32_e32 v17, v18
	v_lshlrev_b64 v[16:17], 3, v[16:17]
	v_add_co_u32_e64 v16, s[0:1], v12, v16
	v_addc_co_u32_e64 v17, s[0:1], v13, v17, s[0:1]
	global_load_dwordx2 v[18:19], v[16:17], off
	s_waitcnt vmcnt(0)
	v_mul_f64 v[18:19], v[18:19], s[46:47]
	s_waitcnt lgkmcnt(0)
	v_fmac_f64_e32 v[18:19], s[18:19], v[0:1]
	global_store_dwordx2 v[16:17], v[18:19], off
.LBB55_30:
	s_or_b64 exec, exec, s[2:3]
	s_waitcnt lgkmcnt(1)
	ds_bpermute_b32 v0, v14, v2
	s_waitcnt lgkmcnt(1)
	ds_bpermute_b32 v1, v14, v3
	v_or_b32_e32 v2, 4, v10
	v_mov_b32_e32 v3, v11
	v_cmp_lt_u64_e64 s[0:1], v[2:3], v[8:9]
	s_and_b64 s[0:1], vcc, s[0:1]
	s_and_saveexec_b64 s[2:3], s[0:1]
	s_cbranch_execz .LBB55_32
; %bb.31:
	v_mad_u64_u32 v[16:17], s[0:1], v2, s12, 0
	v_mov_b32_e32 v18, v17
	v_mad_u64_u32 v[2:3], s[0:1], v2, s13, v[18:19]
	v_mov_b32_e32 v17, v2
	v_lshlrev_b64 v[2:3], 3, v[16:17]
	v_add_co_u32_e64 v2, s[0:1], v12, v2
	v_addc_co_u32_e64 v3, s[0:1], v13, v3, s[0:1]
	global_load_dwordx2 v[16:17], v[2:3], off
	s_waitcnt vmcnt(0)
	v_mul_f64 v[16:17], v[16:17], s[46:47]
	s_waitcnt lgkmcnt(0)
	v_fmac_f64_e32 v[16:17], s[18:19], v[0:1]
	global_store_dwordx2 v[2:3], v[16:17], off
.LBB55_32:
	s_or_b64 exec, exec, s[2:3]
	s_waitcnt lgkmcnt(1)
	ds_bpermute_b32 v0, v14, v4
	s_waitcnt lgkmcnt(1)
	ds_bpermute_b32 v1, v14, v5
	v_or_b32_e32 v2, 8, v10
	v_mov_b32_e32 v3, v11
	v_cmp_lt_u64_e64 s[0:1], v[2:3], v[8:9]
	s_and_b64 s[0:1], vcc, s[0:1]
	s_and_saveexec_b64 s[2:3], s[0:1]
	s_cbranch_execz .LBB55_34
; %bb.33:
	v_mad_u64_u32 v[4:5], s[0:1], v2, s12, 0
	v_mov_b32_e32 v16, v5
	v_mad_u64_u32 v[2:3], s[0:1], v2, s13, v[16:17]
	v_mov_b32_e32 v5, v2
	v_lshlrev_b64 v[2:3], 3, v[4:5]
	v_add_co_u32_e64 v2, s[0:1], v12, v2
	v_addc_co_u32_e64 v3, s[0:1], v13, v3, s[0:1]
	global_load_dwordx2 v[4:5], v[2:3], off
	s_waitcnt vmcnt(0)
	v_mul_f64 v[4:5], v[4:5], s[46:47]
	s_waitcnt lgkmcnt(0)
	v_fmac_f64_e32 v[4:5], s[18:19], v[0:1]
	global_store_dwordx2 v[2:3], v[4:5], off
.LBB55_34:
	s_or_b64 exec, exec, s[2:3]
	s_waitcnt lgkmcnt(1)
	ds_bpermute_b32 v0, v14, v6
	s_waitcnt lgkmcnt(1)
	ds_bpermute_b32 v1, v14, v7
	v_or_b32_e32 v10, 12, v10
	v_cmp_lt_u64_e64 s[0:1], v[10:11], v[8:9]
	s_and_b64 s[0:1], vcc, s[0:1]
	s_and_b64 exec, exec, s[0:1]
	s_cbranch_execz .LBB55_36
; %bb.35:
	v_mad_u64_u32 v[2:3], s[0:1], v10, s12, 0
	v_mov_b32_e32 v4, v3
	v_mad_u64_u32 v[4:5], s[0:1], v10, s13, v[4:5]
	v_mov_b32_e32 v3, v4
	v_lshlrev_b64 v[2:3], 3, v[2:3]
	v_add_co_u32_e32 v2, vcc, v12, v2
	v_addc_co_u32_e32 v3, vcc, v13, v3, vcc
	global_load_dwordx2 v[4:5], v[2:3], off
	s_waitcnt vmcnt(0)
	v_mul_f64 v[4:5], v[4:5], s[46:47]
	s_waitcnt lgkmcnt(0)
	v_fmac_f64_e32 v[4:5], s[18:19], v[0:1]
	global_store_dwordx2 v[2:3], v[4:5], off
.LBB55_36:
	s_endpgm
	.section	.rodata,"a",@progbits
	.p2align	6, 0x0
	.amdhsa_kernel _ZN9rocsolver6v33100L16mfma_gemm_kernelIdldPKPdS2_S2_EEv18rocblas_operation_S5_T0_S6_S6_T1_T2_lS6_S6_lT3_lS6_S6_lS7_T4_lS6_S6_l
		.amdhsa_group_segment_fixed_size 0
		.amdhsa_private_segment_fixed_size 0
		.amdhsa_kernarg_size 424
		.amdhsa_user_sgpr_count 6
		.amdhsa_user_sgpr_private_segment_buffer 1
		.amdhsa_user_sgpr_dispatch_ptr 0
		.amdhsa_user_sgpr_queue_ptr 0
		.amdhsa_user_sgpr_kernarg_segment_ptr 1
		.amdhsa_user_sgpr_dispatch_id 0
		.amdhsa_user_sgpr_flat_scratch_init 0
		.amdhsa_user_sgpr_kernarg_preload_length 0
		.amdhsa_user_sgpr_kernarg_preload_offset 0
		.amdhsa_user_sgpr_private_segment_size 0
		.amdhsa_uses_dynamic_stack 0
		.amdhsa_system_sgpr_private_segment_wavefront_offset 0
		.amdhsa_system_sgpr_workgroup_id_x 1
		.amdhsa_system_sgpr_workgroup_id_y 1
		.amdhsa_system_sgpr_workgroup_id_z 1
		.amdhsa_system_sgpr_workgroup_info 0
		.amdhsa_system_vgpr_workitem_id 1
		.amdhsa_next_free_vgpr 37
		.amdhsa_next_free_sgpr 52
		.amdhsa_accum_offset 40
		.amdhsa_reserve_vcc 1
		.amdhsa_reserve_flat_scratch 0
		.amdhsa_float_round_mode_32 0
		.amdhsa_float_round_mode_16_64 0
		.amdhsa_float_denorm_mode_32 3
		.amdhsa_float_denorm_mode_16_64 3
		.amdhsa_dx10_clamp 1
		.amdhsa_ieee_mode 1
		.amdhsa_fp16_overflow 0
		.amdhsa_tg_split 0
		.amdhsa_exception_fp_ieee_invalid_op 0
		.amdhsa_exception_fp_denorm_src 0
		.amdhsa_exception_fp_ieee_div_zero 0
		.amdhsa_exception_fp_ieee_overflow 0
		.amdhsa_exception_fp_ieee_underflow 0
		.amdhsa_exception_fp_ieee_inexact 0
		.amdhsa_exception_int_div_zero 0
	.end_amdhsa_kernel
	.section	.text._ZN9rocsolver6v33100L16mfma_gemm_kernelIdldPKPdS2_S2_EEv18rocblas_operation_S5_T0_S6_S6_T1_T2_lS6_S6_lT3_lS6_S6_lS7_T4_lS6_S6_l,"axG",@progbits,_ZN9rocsolver6v33100L16mfma_gemm_kernelIdldPKPdS2_S2_EEv18rocblas_operation_S5_T0_S6_S6_T1_T2_lS6_S6_lT3_lS6_S6_lS7_T4_lS6_S6_l,comdat
.Lfunc_end55:
	.size	_ZN9rocsolver6v33100L16mfma_gemm_kernelIdldPKPdS2_S2_EEv18rocblas_operation_S5_T0_S6_S6_T1_T2_lS6_S6_lT3_lS6_S6_lS7_T4_lS6_S6_l, .Lfunc_end55-_ZN9rocsolver6v33100L16mfma_gemm_kernelIdldPKPdS2_S2_EEv18rocblas_operation_S5_T0_S6_S6_T1_T2_lS6_S6_lT3_lS6_S6_lS7_T4_lS6_S6_l
                                        ; -- End function
	.section	.AMDGPU.csdata,"",@progbits
; Kernel info:
; codeLenInByte = 2188
; NumSgprs: 56
; NumVgprs: 37
; NumAgprs: 0
; TotalNumVgprs: 37
; ScratchSize: 0
; MemoryBound: 0
; FloatMode: 240
; IeeeMode: 1
; LDSByteSize: 0 bytes/workgroup (compile time only)
; SGPRBlocks: 6
; VGPRBlocks: 4
; NumSGPRsForWavesPerEU: 56
; NumVGPRsForWavesPerEU: 37
; AccumOffset: 40
; Occupancy: 8
; WaveLimiterHint : 0
; COMPUTE_PGM_RSRC2:SCRATCH_EN: 0
; COMPUTE_PGM_RSRC2:USER_SGPR: 6
; COMPUTE_PGM_RSRC2:TRAP_HANDLER: 0
; COMPUTE_PGM_RSRC2:TGID_X_EN: 1
; COMPUTE_PGM_RSRC2:TGID_Y_EN: 1
; COMPUTE_PGM_RSRC2:TGID_Z_EN: 1
; COMPUTE_PGM_RSRC2:TIDIG_COMP_CNT: 1
; COMPUTE_PGM_RSRC3_GFX90A:ACCUM_OFFSET: 9
; COMPUTE_PGM_RSRC3_GFX90A:TG_SPLIT: 0
	.section	.text._ZN9rocsolver6v33100L11gemm_kernelIdlPKdPKPdS4_S4_EEvT0_S7_S7_T1_bT2_lS7_S7_lbT3_lS7_S7_lS8_T4_lS7_S7_l,"axG",@progbits,_ZN9rocsolver6v33100L11gemm_kernelIdlPKdPKPdS4_S4_EEvT0_S7_S7_T1_bT2_lS7_S7_lbT3_lS7_S7_lS8_T4_lS7_S7_l,comdat
	.globl	_ZN9rocsolver6v33100L11gemm_kernelIdlPKdPKPdS4_S4_EEvT0_S7_S7_T1_bT2_lS7_S7_lbT3_lS7_S7_lS8_T4_lS7_S7_l ; -- Begin function _ZN9rocsolver6v33100L11gemm_kernelIdlPKdPKPdS4_S4_EEvT0_S7_S7_T1_bT2_lS7_S7_lbT3_lS7_S7_lS8_T4_lS7_S7_l
	.p2align	8
	.type	_ZN9rocsolver6v33100L11gemm_kernelIdlPKdPKPdS4_S4_EEvT0_S7_S7_T1_bT2_lS7_S7_lbT3_lS7_S7_lS8_T4_lS7_S7_l,@function
_ZN9rocsolver6v33100L11gemm_kernelIdlPKdPKPdS4_S4_EEvT0_S7_S7_T1_bT2_lS7_S7_lbT3_lS7_S7_lS8_T4_lS7_S7_l: ; @_ZN9rocsolver6v33100L11gemm_kernelIdlPKdPKPdS4_S4_EEvT0_S7_S7_T1_bT2_lS7_S7_lbT3_lS7_S7_lS8_T4_lS7_S7_l
; %bb.0:
	s_load_dword s0, s[4:5], 0xbc
	s_load_dwordx8 s[24:31], s[4:5], 0x0
	v_and_b32_e32 v4, 0x3ff, v0
	v_mov_b32_e32 v5, 0
	v_mov_b32_e32 v1, s6
	s_waitcnt lgkmcnt(0)
	s_lshr_b32 s2, s0, 16
	s_and_b32 s0, s0, 0xffff
	v_mad_u64_u32 v[2:3], s[0:1], s0, v1, v[4:5]
	v_bfe_u32 v4, v0, 10, 10
	v_mov_b32_e32 v0, s7
	v_mad_u64_u32 v[0:1], s[0:1], s2, v0, v[4:5]
	v_cmp_gt_i64_e32 vcc, s[24:25], v[2:3]
	v_cmp_gt_i64_e64 s[0:1], s[26:27], v[0:1]
	s_mov_b32 s9, 0
	s_and_b64 s[0:1], vcc, s[0:1]
	s_and_saveexec_b64 s[2:3], s[0:1]
	s_cbranch_execz .LBB56_6
; %bb.1:
	s_load_dwordx16 s[12:27], s[4:5], 0x58
	v_cmp_lt_i64_e64 s[0:1], s[28:29], 1
	s_and_b64 vcc, exec, s[0:1]
	s_cbranch_vccnz .LBB56_4
; %bb.2:
	s_load_dwordx8 s[36:43], s[4:5], 0x28
	s_lshl_b64 s[0:1], s[8:9], 3
	s_waitcnt lgkmcnt(0)
	s_mul_i32 s3, s8, s21
	s_mul_hi_u32 s9, s8, s20
	s_mul_i32 s2, s8, s20
	s_add_u32 s0, s36, s0
	s_addc_u32 s1, s37, s1
	s_load_dwordx2 s[0:1], s[0:1], 0x0
	s_lshl_b64 s[6:7], s[38:39], 3
	v_mul_lo_u32 v6, v3, s40
	v_mul_lo_u32 v7, v2, s41
	;; [unrolled: 1-line block ×3, first 2 shown]
	s_waitcnt lgkmcnt(0)
	s_add_u32 s6, s0, s6
	s_addc_u32 s7, s1, s7
	s_add_i32 s3, s9, s3
	s_lshl_b64 s[0:1], s[2:3], 3
	s_add_u32 s2, s12, s0
	s_addc_u32 s3, s13, s1
	s_lshl_b64 s[0:1], s[14:15], 3
	s_add_u32 s2, s2, s0
	s_addc_u32 s3, s3, s1
	v_mad_u64_u32 v[4:5], s[0:1], v2, s40, 0
	v_add3_u32 v5, v5, v7, v6
	v_lshlrev_b64 v[4:5], 3, v[4:5]
	v_mov_b32_e32 v7, s7
	v_add_co_u32_e32 v6, vcc, s6, v4
	v_addc_co_u32_e32 v7, vcc, v7, v5, vcc
	v_mul_lo_u32 v9, v0, s19
	v_mad_u64_u32 v[4:5], s[0:1], v0, s18, 0
	v_add3_u32 v5, v5, v9, v8
	v_lshlrev_b64 v[4:5], 3, v[4:5]
	v_mov_b32_e32 v9, s3
	v_add_co_u32_e32 v8, vcc, s2, v4
	s_lshl_b64 s[0:1], s[16:17], 3
	s_lshl_b64 s[2:3], s[42:43], 3
	v_addc_co_u32_e32 v9, vcc, v9, v5, vcc
	v_pk_mov_b32 v[4:5], 0, 0
	v_mov_b32_e32 v10, s1
	v_mov_b32_e32 v11, s3
.LBB56_3:                               ; =>This Inner Loop Header: Depth=1
	global_load_dwordx2 v[12:13], v[6:7], off
	global_load_dwordx2 v[14:15], v[8:9], off
	v_add_co_u32_e32 v8, vcc, s0, v8
	v_addc_co_u32_e32 v9, vcc, v9, v10, vcc
	s_add_u32 s28, s28, -1
	v_add_co_u32_e32 v6, vcc, s2, v6
	s_addc_u32 s29, s29, -1
	v_addc_co_u32_e32 v7, vcc, v7, v11, vcc
	s_cmp_eq_u64 s[28:29], 0
	s_waitcnt vmcnt(0)
	v_fmac_f64_e32 v[4:5], v[12:13], v[14:15]
	s_cbranch_scc0 .LBB56_3
	s_branch .LBB56_5
.LBB56_4:
	v_pk_mov_b32 v[4:5], 0, 0
.LBB56_5:
	s_load_dwordx2 s[0:1], s[30:31], 0x0
	s_waitcnt lgkmcnt(0)
	s_load_dwordx2 s[2:3], s[22:23], 0x0
                                        ; kill: killed $sgpr30_sgpr31
                                        ; kill: killed $sgpr22_sgpr23
	s_load_dwordx2 s[6:7], s[4:5], 0xa8
	s_load_dwordx4 s[12:15], s[4:5], 0x98
	s_waitcnt lgkmcnt(0)
	s_mul_i32 s5, s8, s7
	s_mul_hi_u32 s7, s8, s6
	s_mul_i32 s4, s8, s6
	s_add_i32 s5, s7, s5
	s_lshl_b64 s[4:5], s[4:5], 3
	s_add_u32 s6, s24, s4
	s_addc_u32 s7, s25, s5
	s_lshl_b64 s[4:5], s[26:27], 3
	s_add_u32 s6, s6, s4
	s_addc_u32 s7, s7, s5
	v_mul_lo_u32 v6, v3, s12
	v_mul_lo_u32 v7, v2, s13
	v_mad_u64_u32 v[2:3], s[4:5], v2, s12, 0
	v_add3_u32 v3, v3, v7, v6
	v_mul_lo_u32 v6, v1, s14
	v_mul_lo_u32 v7, v0, s15
	v_mad_u64_u32 v[0:1], s[4:5], v0, s14, 0
	v_lshlrev_b64 v[2:3], 3, v[2:3]
	v_add3_u32 v1, v1, v7, v6
	v_mov_b32_e32 v6, s7
	v_add_co_u32_e32 v2, vcc, s6, v2
	v_addc_co_u32_e32 v3, vcc, v6, v3, vcc
	v_lshlrev_b64 v[0:1], 3, v[0:1]
	v_add_co_u32_e32 v0, vcc, v2, v0
	v_addc_co_u32_e32 v1, vcc, v3, v1, vcc
	global_load_dwordx2 v[2:3], v[0:1], off
	s_waitcnt vmcnt(0)
	v_mul_f64 v[2:3], s[2:3], v[2:3]
	v_fmac_f64_e32 v[2:3], s[0:1], v[4:5]
	global_store_dwordx2 v[0:1], v[2:3], off
.LBB56_6:
	s_endpgm
	.section	.rodata,"a",@progbits
	.p2align	6, 0x0
	.amdhsa_kernel _ZN9rocsolver6v33100L11gemm_kernelIdlPKdPKPdS4_S4_EEvT0_S7_S7_T1_bT2_lS7_S7_lbT3_lS7_S7_lS8_T4_lS7_S7_l
		.amdhsa_group_segment_fixed_size 0
		.amdhsa_private_segment_fixed_size 0
		.amdhsa_kernarg_size 432
		.amdhsa_user_sgpr_count 6
		.amdhsa_user_sgpr_private_segment_buffer 1
		.amdhsa_user_sgpr_dispatch_ptr 0
		.amdhsa_user_sgpr_queue_ptr 0
		.amdhsa_user_sgpr_kernarg_segment_ptr 1
		.amdhsa_user_sgpr_dispatch_id 0
		.amdhsa_user_sgpr_flat_scratch_init 0
		.amdhsa_user_sgpr_kernarg_preload_length 0
		.amdhsa_user_sgpr_kernarg_preload_offset 0
		.amdhsa_user_sgpr_private_segment_size 0
		.amdhsa_uses_dynamic_stack 0
		.amdhsa_system_sgpr_private_segment_wavefront_offset 0
		.amdhsa_system_sgpr_workgroup_id_x 1
		.amdhsa_system_sgpr_workgroup_id_y 1
		.amdhsa_system_sgpr_workgroup_id_z 1
		.amdhsa_system_sgpr_workgroup_info 0
		.amdhsa_system_vgpr_workitem_id 1
		.amdhsa_next_free_vgpr 16
		.amdhsa_next_free_sgpr 44
		.amdhsa_accum_offset 16
		.amdhsa_reserve_vcc 1
		.amdhsa_reserve_flat_scratch 0
		.amdhsa_float_round_mode_32 0
		.amdhsa_float_round_mode_16_64 0
		.amdhsa_float_denorm_mode_32 3
		.amdhsa_float_denorm_mode_16_64 3
		.amdhsa_dx10_clamp 1
		.amdhsa_ieee_mode 1
		.amdhsa_fp16_overflow 0
		.amdhsa_tg_split 0
		.amdhsa_exception_fp_ieee_invalid_op 0
		.amdhsa_exception_fp_denorm_src 0
		.amdhsa_exception_fp_ieee_div_zero 0
		.amdhsa_exception_fp_ieee_overflow 0
		.amdhsa_exception_fp_ieee_underflow 0
		.amdhsa_exception_fp_ieee_inexact 0
		.amdhsa_exception_int_div_zero 0
	.end_amdhsa_kernel
	.section	.text._ZN9rocsolver6v33100L11gemm_kernelIdlPKdPKPdS4_S4_EEvT0_S7_S7_T1_bT2_lS7_S7_lbT3_lS7_S7_lS8_T4_lS7_S7_l,"axG",@progbits,_ZN9rocsolver6v33100L11gemm_kernelIdlPKdPKPdS4_S4_EEvT0_S7_S7_T1_bT2_lS7_S7_lbT3_lS7_S7_lS8_T4_lS7_S7_l,comdat
.Lfunc_end56:
	.size	_ZN9rocsolver6v33100L11gemm_kernelIdlPKdPKPdS4_S4_EEvT0_S7_S7_T1_bT2_lS7_S7_lbT3_lS7_S7_lS8_T4_lS7_S7_l, .Lfunc_end56-_ZN9rocsolver6v33100L11gemm_kernelIdlPKdPKPdS4_S4_EEvT0_S7_S7_T1_bT2_lS7_S7_lbT3_lS7_S7_lS8_T4_lS7_S7_l
                                        ; -- End function
	.section	.AMDGPU.csdata,"",@progbits
; Kernel info:
; codeLenInByte = 628
; NumSgprs: 48
; NumVgprs: 16
; NumAgprs: 0
; TotalNumVgprs: 16
; ScratchSize: 0
; MemoryBound: 0
; FloatMode: 240
; IeeeMode: 1
; LDSByteSize: 0 bytes/workgroup (compile time only)
; SGPRBlocks: 5
; VGPRBlocks: 1
; NumSGPRsForWavesPerEU: 48
; NumVGPRsForWavesPerEU: 16
; AccumOffset: 16
; Occupancy: 8
; WaveLimiterHint : 0
; COMPUTE_PGM_RSRC2:SCRATCH_EN: 0
; COMPUTE_PGM_RSRC2:USER_SGPR: 6
; COMPUTE_PGM_RSRC2:TRAP_HANDLER: 0
; COMPUTE_PGM_RSRC2:TGID_X_EN: 1
; COMPUTE_PGM_RSRC2:TGID_Y_EN: 1
; COMPUTE_PGM_RSRC2:TGID_Z_EN: 1
; COMPUTE_PGM_RSRC2:TIDIG_COMP_CNT: 1
; COMPUTE_PGM_RSRC3_GFX90A:ACCUM_OFFSET: 3
; COMPUTE_PGM_RSRC3_GFX90A:TG_SPLIT: 0
	.section	.text._ZN9rocsolver6v33100L11gemm_kernelIdldPKPdS2_S2_EEvT0_S5_S5_T1_bT2_lS5_S5_lbT3_lS5_S5_lS6_T4_lS5_S5_l,"axG",@progbits,_ZN9rocsolver6v33100L11gemm_kernelIdldPKPdS2_S2_EEvT0_S5_S5_T1_bT2_lS5_S5_lbT3_lS5_S5_lS6_T4_lS5_S5_l,comdat
	.globl	_ZN9rocsolver6v33100L11gemm_kernelIdldPKPdS2_S2_EEvT0_S5_S5_T1_bT2_lS5_S5_lbT3_lS5_S5_lS6_T4_lS5_S5_l ; -- Begin function _ZN9rocsolver6v33100L11gemm_kernelIdldPKPdS2_S2_EEvT0_S5_S5_T1_bT2_lS5_S5_lbT3_lS5_S5_lS6_T4_lS5_S5_l
	.p2align	8
	.type	_ZN9rocsolver6v33100L11gemm_kernelIdldPKPdS2_S2_EEvT0_S5_S5_T1_bT2_lS5_S5_lbT3_lS5_S5_lS6_T4_lS5_S5_l,@function
_ZN9rocsolver6v33100L11gemm_kernelIdldPKPdS2_S2_EEvT0_S5_S5_T1_bT2_lS5_S5_lbT3_lS5_S5_lS6_T4_lS5_S5_l: ; @_ZN9rocsolver6v33100L11gemm_kernelIdldPKPdS2_S2_EEvT0_S5_S5_T1_bT2_lS5_S5_lbT3_lS5_S5_lS6_T4_lS5_S5_l
; %bb.0:
	s_load_dword s0, s[4:5], 0xbc
	s_load_dwordx8 s[24:31], s[4:5], 0x0
	v_and_b32_e32 v4, 0x3ff, v0
	v_mov_b32_e32 v5, 0
	v_mov_b32_e32 v1, s6
	s_waitcnt lgkmcnt(0)
	s_lshr_b32 s2, s0, 16
	s_and_b32 s0, s0, 0xffff
	v_mad_u64_u32 v[2:3], s[0:1], s0, v1, v[4:5]
	v_bfe_u32 v4, v0, 10, 10
	v_mov_b32_e32 v0, s7
	v_mad_u64_u32 v[0:1], s[0:1], s2, v0, v[4:5]
	v_cmp_gt_i64_e32 vcc, s[24:25], v[2:3]
	v_cmp_gt_i64_e64 s[0:1], s[26:27], v[0:1]
	s_mov_b32 s9, 0
	s_and_b64 s[0:1], vcc, s[0:1]
	s_and_saveexec_b64 s[2:3], s[0:1]
	s_cbranch_execz .LBB57_6
; %bb.1:
	s_load_dwordx16 s[12:27], s[4:5], 0x58
	v_cmp_lt_i64_e64 s[0:1], s[28:29], 1
	s_and_b64 vcc, exec, s[0:1]
	s_cbranch_vccnz .LBB57_4
; %bb.2:
	s_load_dwordx8 s[36:43], s[4:5], 0x28
	s_lshl_b64 s[0:1], s[8:9], 3
	s_waitcnt lgkmcnt(0)
	s_mul_i32 s3, s8, s21
	s_mul_hi_u32 s9, s8, s20
	s_mul_i32 s2, s8, s20
	s_add_u32 s0, s36, s0
	s_addc_u32 s1, s37, s1
	s_load_dwordx2 s[0:1], s[0:1], 0x0
	s_lshl_b64 s[6:7], s[38:39], 3
	v_mul_lo_u32 v6, v3, s40
	v_mul_lo_u32 v7, v2, s41
	;; [unrolled: 1-line block ×3, first 2 shown]
	s_waitcnt lgkmcnt(0)
	s_add_u32 s6, s0, s6
	s_addc_u32 s7, s1, s7
	s_add_i32 s3, s9, s3
	s_lshl_b64 s[0:1], s[2:3], 3
	s_add_u32 s2, s12, s0
	s_addc_u32 s3, s13, s1
	s_lshl_b64 s[0:1], s[14:15], 3
	s_add_u32 s2, s2, s0
	s_addc_u32 s3, s3, s1
	v_mad_u64_u32 v[4:5], s[0:1], v2, s40, 0
	v_add3_u32 v5, v5, v7, v6
	v_lshlrev_b64 v[4:5], 3, v[4:5]
	v_mov_b32_e32 v7, s7
	v_add_co_u32_e32 v6, vcc, s6, v4
	v_addc_co_u32_e32 v7, vcc, v7, v5, vcc
	v_mul_lo_u32 v9, v0, s19
	v_mad_u64_u32 v[4:5], s[0:1], v0, s18, 0
	v_add3_u32 v5, v5, v9, v8
	v_lshlrev_b64 v[4:5], 3, v[4:5]
	v_mov_b32_e32 v9, s3
	v_add_co_u32_e32 v8, vcc, s2, v4
	s_lshl_b64 s[0:1], s[16:17], 3
	s_lshl_b64 s[2:3], s[42:43], 3
	v_addc_co_u32_e32 v9, vcc, v9, v5, vcc
	v_pk_mov_b32 v[4:5], 0, 0
	v_mov_b32_e32 v10, s1
	v_mov_b32_e32 v11, s3
.LBB57_3:                               ; =>This Inner Loop Header: Depth=1
	global_load_dwordx2 v[12:13], v[6:7], off
	global_load_dwordx2 v[14:15], v[8:9], off
	v_add_co_u32_e32 v8, vcc, s0, v8
	v_addc_co_u32_e32 v9, vcc, v9, v10, vcc
	s_add_u32 s28, s28, -1
	v_add_co_u32_e32 v6, vcc, s2, v6
	s_addc_u32 s29, s29, -1
	v_addc_co_u32_e32 v7, vcc, v7, v11, vcc
	s_cmp_eq_u64 s[28:29], 0
	s_waitcnt vmcnt(0)
	v_fmac_f64_e32 v[4:5], v[12:13], v[14:15]
	s_cbranch_scc0 .LBB57_3
	s_branch .LBB57_5
.LBB57_4:
	v_pk_mov_b32 v[4:5], 0, 0
.LBB57_5:
	s_load_dwordx2 s[6:7], s[4:5], 0xa8
	s_load_dwordx4 s[0:3], s[4:5], 0x98
	s_waitcnt lgkmcnt(0)
	s_mul_i32 s5, s8, s7
	s_mul_hi_u32 s7, s8, s6
	s_mul_i32 s4, s8, s6
	s_add_i32 s5, s7, s5
	s_lshl_b64 s[4:5], s[4:5], 3
	s_add_u32 s6, s24, s4
	s_addc_u32 s7, s25, s5
	s_lshl_b64 s[4:5], s[26:27], 3
	v_mul_lo_u32 v6, v3, s0
	v_mul_lo_u32 v7, v2, s1
	v_mad_u64_u32 v[2:3], s[0:1], v2, s0, 0
	s_add_u32 s4, s6, s4
	v_add3_u32 v3, v3, v7, v6
	s_addc_u32 s5, s7, s5
	v_mul_lo_u32 v6, v1, s2
	v_mul_lo_u32 v7, v0, s3
	v_mad_u64_u32 v[0:1], s[0:1], v0, s2, 0
	v_lshlrev_b64 v[2:3], 3, v[2:3]
	v_add3_u32 v1, v1, v7, v6
	v_mov_b32_e32 v6, s5
	v_add_co_u32_e32 v2, vcc, s4, v2
	v_addc_co_u32_e32 v3, vcc, v6, v3, vcc
	v_lshlrev_b64 v[0:1], 3, v[0:1]
	v_add_co_u32_e32 v0, vcc, v2, v0
	v_addc_co_u32_e32 v1, vcc, v3, v1, vcc
	global_load_dwordx2 v[2:3], v[0:1], off
	s_waitcnt vmcnt(0)
	v_mul_f64 v[2:3], v[2:3], s[22:23]
	v_fmac_f64_e32 v[2:3], s[30:31], v[4:5]
	global_store_dwordx2 v[0:1], v[2:3], off
.LBB57_6:
	s_endpgm
	.section	.rodata,"a",@progbits
	.p2align	6, 0x0
	.amdhsa_kernel _ZN9rocsolver6v33100L11gemm_kernelIdldPKPdS2_S2_EEvT0_S5_S5_T1_bT2_lS5_S5_lbT3_lS5_S5_lS6_T4_lS5_S5_l
		.amdhsa_group_segment_fixed_size 0
		.amdhsa_private_segment_fixed_size 0
		.amdhsa_kernarg_size 432
		.amdhsa_user_sgpr_count 6
		.amdhsa_user_sgpr_private_segment_buffer 1
		.amdhsa_user_sgpr_dispatch_ptr 0
		.amdhsa_user_sgpr_queue_ptr 0
		.amdhsa_user_sgpr_kernarg_segment_ptr 1
		.amdhsa_user_sgpr_dispatch_id 0
		.amdhsa_user_sgpr_flat_scratch_init 0
		.amdhsa_user_sgpr_kernarg_preload_length 0
		.amdhsa_user_sgpr_kernarg_preload_offset 0
		.amdhsa_user_sgpr_private_segment_size 0
		.amdhsa_uses_dynamic_stack 0
		.amdhsa_system_sgpr_private_segment_wavefront_offset 0
		.amdhsa_system_sgpr_workgroup_id_x 1
		.amdhsa_system_sgpr_workgroup_id_y 1
		.amdhsa_system_sgpr_workgroup_id_z 1
		.amdhsa_system_sgpr_workgroup_info 0
		.amdhsa_system_vgpr_workitem_id 1
		.amdhsa_next_free_vgpr 16
		.amdhsa_next_free_sgpr 44
		.amdhsa_accum_offset 16
		.amdhsa_reserve_vcc 1
		.amdhsa_reserve_flat_scratch 0
		.amdhsa_float_round_mode_32 0
		.amdhsa_float_round_mode_16_64 0
		.amdhsa_float_denorm_mode_32 3
		.amdhsa_float_denorm_mode_16_64 3
		.amdhsa_dx10_clamp 1
		.amdhsa_ieee_mode 1
		.amdhsa_fp16_overflow 0
		.amdhsa_tg_split 0
		.amdhsa_exception_fp_ieee_invalid_op 0
		.amdhsa_exception_fp_denorm_src 0
		.amdhsa_exception_fp_ieee_div_zero 0
		.amdhsa_exception_fp_ieee_overflow 0
		.amdhsa_exception_fp_ieee_underflow 0
		.amdhsa_exception_fp_ieee_inexact 0
		.amdhsa_exception_int_div_zero 0
	.end_amdhsa_kernel
	.section	.text._ZN9rocsolver6v33100L11gemm_kernelIdldPKPdS2_S2_EEvT0_S5_S5_T1_bT2_lS5_S5_lbT3_lS5_S5_lS6_T4_lS5_S5_l,"axG",@progbits,_ZN9rocsolver6v33100L11gemm_kernelIdldPKPdS2_S2_EEvT0_S5_S5_T1_bT2_lS5_S5_lbT3_lS5_S5_lS6_T4_lS5_S5_l,comdat
.Lfunc_end57:
	.size	_ZN9rocsolver6v33100L11gemm_kernelIdldPKPdS2_S2_EEvT0_S5_S5_T1_bT2_lS5_S5_lbT3_lS5_S5_lS6_T4_lS5_S5_l, .Lfunc_end57-_ZN9rocsolver6v33100L11gemm_kernelIdldPKPdS2_S2_EEvT0_S5_S5_T1_bT2_lS5_S5_lbT3_lS5_S5_lS6_T4_lS5_S5_l
                                        ; -- End function
	.section	.AMDGPU.csdata,"",@progbits
; Kernel info:
; codeLenInByte = 608
; NumSgprs: 48
; NumVgprs: 16
; NumAgprs: 0
; TotalNumVgprs: 16
; ScratchSize: 0
; MemoryBound: 0
; FloatMode: 240
; IeeeMode: 1
; LDSByteSize: 0 bytes/workgroup (compile time only)
; SGPRBlocks: 5
; VGPRBlocks: 1
; NumSGPRsForWavesPerEU: 48
; NumVGPRsForWavesPerEU: 16
; AccumOffset: 16
; Occupancy: 8
; WaveLimiterHint : 0
; COMPUTE_PGM_RSRC2:SCRATCH_EN: 0
; COMPUTE_PGM_RSRC2:USER_SGPR: 6
; COMPUTE_PGM_RSRC2:TRAP_HANDLER: 0
; COMPUTE_PGM_RSRC2:TGID_X_EN: 1
; COMPUTE_PGM_RSRC2:TGID_Y_EN: 1
; COMPUTE_PGM_RSRC2:TGID_Z_EN: 1
; COMPUTE_PGM_RSRC2:TIDIG_COMP_CNT: 1
; COMPUTE_PGM_RSRC3_GFX90A:ACCUM_OFFSET: 3
; COMPUTE_PGM_RSRC3_GFX90A:TG_SPLIT: 0
	.section	.text._ZN9rocsolver6v33100L16mfma_gemm_kernelIdlPKdPdPKS4_S4_EEv18rocblas_operation_S7_T0_S8_S8_T1_T2_lS8_S8_lT3_lS8_S8_lS9_T4_lS8_S8_l,"axG",@progbits,_ZN9rocsolver6v33100L16mfma_gemm_kernelIdlPKdPdPKS4_S4_EEv18rocblas_operation_S7_T0_S8_S8_T1_T2_lS8_S8_lT3_lS8_S8_lS9_T4_lS8_S8_l,comdat
	.globl	_ZN9rocsolver6v33100L16mfma_gemm_kernelIdlPKdPdPKS4_S4_EEv18rocblas_operation_S7_T0_S8_S8_T1_T2_lS8_S8_lT3_lS8_S8_lS9_T4_lS8_S8_l ; -- Begin function _ZN9rocsolver6v33100L16mfma_gemm_kernelIdlPKdPdPKS4_S4_EEv18rocblas_operation_S7_T0_S8_S8_T1_T2_lS8_S8_lT3_lS8_S8_lS9_T4_lS8_S8_l
	.p2align	8
	.type	_ZN9rocsolver6v33100L16mfma_gemm_kernelIdlPKdPdPKS4_S4_EEv18rocblas_operation_S7_T0_S8_S8_T1_T2_lS8_S8_lT3_lS8_S8_lS9_T4_lS8_S8_l,@function
_ZN9rocsolver6v33100L16mfma_gemm_kernelIdlPKdPdPKS4_S4_EEv18rocblas_operation_S7_T0_S8_S8_T1_T2_lS8_S8_lT3_lS8_S8_lS9_T4_lS8_S8_l: ; @_ZN9rocsolver6v33100L16mfma_gemm_kernelIdlPKdPdPKS4_S4_EEv18rocblas_operation_S7_T0_S8_S8_T1_T2_lS8_S8_lT3_lS8_S8_lS9_T4_lS8_S8_l
; %bb.0:
	s_load_dword s0, s[4:5], 0xb4
	s_load_dwordx16 s[12:27], s[4:5], 0x8
	v_and_b32_e32 v1, 0x3ff, v0
	v_lshrrev_b32_e32 v8, 6, v1
	v_mov_b32_e32 v9, 0
	s_waitcnt lgkmcnt(0)
	s_lshr_b32 s2, s0, 16
	s_bfe_u32 s0, s0, 0xa0006
	v_bfe_u32 v2, v0, 10, 10
	v_mov_b32_e32 v0, s6
	v_mov_b32_e32 v3, v9
	v_mad_u64_u32 v[22:23], s[0:1], s0, v0, v[8:9]
	v_mov_b32_e32 v0, s7
	v_mad_u64_u32 v[26:27], s[0:1], s2, v0, v[2:3]
	v_lshlrev_b64 v[12:13], 4, v[22:23]
	v_lshlrev_b64 v[14:15], 4, v[26:27]
	v_cmp_gt_i64_e32 vcc, s[12:13], v[12:13]
	v_cmp_gt_i64_e64 s[0:1], s[14:15], v[14:15]
	s_and_b64 s[0:1], vcc, s[0:1]
	s_and_saveexec_b64 s[2:3], s[0:1]
	s_cbranch_execz .LBB58_36
; %bb.1:
	s_load_dwordx8 s[36:43], s[4:5], 0x78
	s_load_dwordx4 s[28:31], s[4:5], 0x98
	v_add_co_u32_e32 v2, vcc, 16, v12
	v_addc_co_u32_e32 v3, vcc, 0, v13, vcc
	s_and_b32 s0, s12, 15
	v_mov_b32_e32 v0, s0
	v_cmp_lt_u64_e32 vcc, s[12:13], v[2:3]
	v_cndmask_b32_e32 v8, 16, v0, vcc
	v_add_co_u32_e32 v2, vcc, 16, v14
	s_load_dwordx2 s[10:11], s[18:19], 0x0
	s_waitcnt lgkmcnt(0)
	s_load_dwordx2 s[12:13], s[36:37], 0x0
	v_addc_co_u32_e32 v3, vcc, 0, v15, vcc
	s_and_b32 s0, s14, 15
	v_mov_b32_e32 v0, s0
	v_cmp_lt_u64_e32 vcc, s[14:15], v[2:3]
	v_cndmask_b32_e32 v16, 16, v0, vcc
	v_mov_b32_e32 v17, v9
	v_bfe_u32 v18, v1, 2, 4
	v_mov_b32_e32 v19, v9
	v_cmp_lt_i64_e64 s[0:1], s[16:17], 1
	v_pk_mov_b32 v[6:7], 0, 0
	s_mov_b32 s9, 0
	v_and_b32_e32 v21, 63, v1
	v_and_b32_e32 v10, 3, v1
	v_mov_b32_e32 v11, v9
	s_and_b64 vcc, exec, s[0:1]
	v_cmp_lt_u64_e64 s[0:1], v[18:19], v[16:17]
	v_mbcnt_lo_u32_b32 v34, -1, 0
	v_pk_mov_b32 v[4:5], v[6:7], v[6:7] op_sel:[0,1]
	v_pk_mov_b32 v[2:3], v[6:7], v[6:7] op_sel:[0,1]
	;; [unrolled: 1-line block ×3, first 2 shown]
	s_cbranch_vccnz .LBB58_28
; %bb.2:
	s_load_dwordx2 s[2:3], s[4:5], 0x0
	s_load_dwordx8 s[44:51], s[4:5], 0x48
	s_load_dwordx2 s[34:35], s[4:5], 0x68
	v_mov_b32_e32 v1, 0
	v_and_b32_e32 v0, 15, v21
	s_waitcnt lgkmcnt(0)
	s_cmpk_lg_i32 s2, 0x6f
	s_cselect_b64 s[14:15], -1, 0
	s_cmpk_lg_i32 s3, 0x6f
	s_cselect_b64 s[18:19], -1, 0
	s_lshl_b64 s[4:5], s[8:9], 3
	s_add_u32 s4, s46, s4
	s_addc_u32 s5, s47, s5
	s_cmpk_eq_i32 s3, 0x6f
	s_cselect_b32 s9, s34, s50
	s_cselect_b32 s33, s35, s51
	s_cmpk_eq_i32 s2, 0x6f
	s_cselect_b32 s46, s24, s26
	s_cselect_b32 s47, s25, s27
	v_lshrrev_b32_e32 v20, 4, v21
	s_load_dwordx2 s[36:37], s[4:5], 0x0
	v_cmp_lt_u64_e64 s[4:5], v[0:1], v[8:9]
	v_cmp_lt_u64_e64 s[6:7], v[0:1], v[16:17]
	v_mul_lo_u32 v1, s47, v22
	v_mul_lo_u32 v4, s46, v23
	v_mad_u64_u32 v[2:3], s[46:47], s46, v22, 0
	v_add3_u32 v3, v3, v4, v1
	v_mad_u64_u32 v[4:5], s[46:47], s26, v20, 0
	v_mov_b32_e32 v6, v5
	v_mad_u64_u32 v[6:7], s[46:47], s27, v20, v[6:7]
	v_mov_b32_e32 v5, v6
	v_lshlrev_b64 v[2:3], 7, v[2:3]
	v_lshlrev_b64 v[4:5], 3, v[4:5]
	s_mul_i32 s45, s45, s8
	s_mul_hi_u32 s46, s44, s8
	v_add_co_u32_e32 v1, vcc, v2, v4
	s_add_i32 s45, s46, s45
	s_mul_i32 s44, s44, s8
	v_addc_co_u32_e32 v4, vcc, v3, v5, vcc
	s_lshl_b64 s[44:45], s[44:45], 3
	v_mov_b32_e32 v24, s45
	v_add_co_u32_e32 v1, vcc, s44, v1
	v_addc_co_u32_e32 v22, vcc, v4, v24, vcc
	v_mad_u64_u32 v[4:5], s[46:47], s24, v0, 0
	v_mov_b32_e32 v6, v5
	v_mad_u64_u32 v[6:7], s[46:47], s25, v0, v[6:7]
	v_mov_b32_e32 v5, v6
	v_lshlrev_b64 v[4:5], 3, v[4:5]
	s_lshl_b64 s[22:23], s[22:23], 3
	v_add_co_u32_e32 v1, vcc, v1, v4
	s_add_u32 s45, s20, s22
	v_addc_co_u32_e32 v4, vcc, v22, v5, vcc
	s_addc_u32 s46, s21, s23
	v_mov_b32_e32 v5, s46
	v_add_co_u32_e32 v22, vcc, s45, v1
	v_addc_co_u32_e32 v23, vcc, v5, v4, vcc
	v_mad_u64_u32 v[4:5], s[22:23], s26, v18, 0
	v_mov_b32_e32 v6, v5
	v_mad_u64_u32 v[6:7], s[22:23], s27, v18, v[6:7]
	v_mov_b32_e32 v5, v6
	v_lshlrev_b64 v[4:5], 3, v[4:5]
	v_add_co_u32_e32 v1, vcc, v2, v4
	v_addc_co_u32_e32 v2, vcc, v3, v5, vcc
	v_add_co_u32_e32 v1, vcc, s44, v1
	v_addc_co_u32_e32 v6, vcc, v2, v24, vcc
	v_mad_u64_u32 v[2:3], s[22:23], s24, v10, 0
	v_mov_b32_e32 v4, v3
	v_mad_u64_u32 v[4:5], s[22:23], s25, v10, v[4:5]
	v_mov_b32_e32 v3, v4
	v_lshlrev_b64 v[2:3], 3, v[2:3]
	v_add_co_u32_e32 v1, vcc, v1, v2
	v_addc_co_u32_e32 v2, vcc, v6, v3, vcc
	v_mov_b32_e32 v3, s46
	v_add_co_u32_e32 v24, vcc, s45, v1
	v_addc_co_u32_e32 v25, vcc, v3, v2, vcc
	s_lshl_b64 s[22:23], s[24:25], 5
	v_mul_lo_u32 v1, s33, v26
	v_mul_lo_u32 v4, s9, v27
	v_mad_u64_u32 v[2:3], s[24:25], s9, v26, 0
	v_add3_u32 v3, v3, v4, v1
	v_mad_u64_u32 v[4:5], s[24:25], s34, v18, 0
	v_mov_b32_e32 v6, v5
	v_mad_u64_u32 v[6:7], s[24:25], s35, v18, v[6:7]
	v_mov_b32_e32 v5, v6
	v_lshlrev_b64 v[2:3], 7, v[2:3]
	v_lshlrev_b64 v[4:5], 3, v[4:5]
	v_add_co_u32_e32 v1, vcc, v2, v4
	v_addc_co_u32_e32 v26, vcc, v3, v5, vcc
	v_mad_u64_u32 v[4:5], s[24:25], s50, v10, 0
	v_mov_b32_e32 v6, v5
	v_mad_u64_u32 v[6:7], s[24:25], s51, v10, v[6:7]
	v_mov_b32_e32 v5, v6
	s_lshl_b64 s[20:21], s[26:27], 5
	v_lshlrev_b64 v[4:5], 3, v[4:5]
	s_lshl_b64 s[24:25], s[48:49], 3
	v_add_co_u32_e32 v1, vcc, v1, v4
	s_waitcnt lgkmcnt(0)
	s_add_u32 s9, s36, s24
	v_addc_co_u32_e32 v4, vcc, v26, v5, vcc
	s_addc_u32 s33, s37, s25
	v_mov_b32_e32 v5, s33
	v_add_co_u32_e32 v26, vcc, s9, v1
	v_addc_co_u32_e32 v27, vcc, v5, v4, vcc
	v_mad_u64_u32 v[4:5], s[26:27], s34, v20, 0
	v_mov_b32_e32 v6, v5
	v_mad_u64_u32 v[6:7], s[26:27], s35, v20, v[6:7]
	v_mov_b32_e32 v5, v6
	v_lshlrev_b64 v[4:5], 3, v[4:5]
	v_add_co_u32_e32 v6, vcc, v2, v4
	v_addc_co_u32_e32 v5, vcc, v3, v5, vcc
	v_mad_u64_u32 v[2:3], s[26:27], s50, v0, 0
	v_mov_b32_e32 v4, v3
	v_lshl_or_b32 v30, v0, 2, v20
	v_mad_u64_u32 v[0:1], s[26:27], s51, v0, v[4:5]
	v_mov_b32_e32 v3, v0
	v_lshlrev_b64 v[0:1], 3, v[2:3]
	v_add_co_u32_e32 v0, vcc, v6, v0
	v_addc_co_u32_e32 v1, vcc, v5, v1, vcc
	v_mov_b32_e32 v2, s33
	v_add_co_u32_e32 v28, vcc, s9, v0
	v_addc_co_u32_e32 v29, vcc, v2, v1, vcc
	v_mbcnt_hi_u32_b32 v2, -1, v34
	v_pk_mov_b32 v[0:1], 0, 0
	v_and_or_b32 v2, v2, 64, v30
	v_cmp_lt_u64_e64 s[2:3], v[18:19], v[8:9]
	s_lshl_b64 s[24:25], s[50:51], 5
	s_lshl_b64 s[26:27], s[34:35], 5
	s_mov_b64 s[34:35], 0
	v_lshlrev_b32_e32 v35, 2, v2
	v_pk_mov_b32 v[2:3], v[0:1], v[0:1] op_sel:[0,1]
	v_pk_mov_b32 v[4:5], v[0:1], v[0:1] op_sel:[0,1]
	;; [unrolled: 1-line block ×3, first 2 shown]
	s_branch .LBB58_6
.LBB58_3:                               ;   in Loop: Header=BB58_6 Depth=1
	s_or_b64 exec, exec, s[44:45]
.LBB58_4:                               ;   in Loop: Header=BB58_6 Depth=1
	s_or_b64 exec, exec, s[36:37]
	s_waitcnt vmcnt(0)
	ds_bpermute_b32 v32, v35, v32
	ds_bpermute_b32 v33, v35, v33
.LBB58_5:                               ;   in Loop: Header=BB58_6 Depth=1
	v_mov_b32_e32 v36, s21
	v_add_co_u32_e32 v22, vcc, s20, v22
	v_addc_co_u32_e32 v23, vcc, v23, v36, vcc
	v_mov_b32_e32 v36, s23
	v_add_co_u32_e32 v24, vcc, s22, v24
	s_waitcnt vmcnt(0) lgkmcnt(0)
	v_mfma_f64_16x16x4f64 v[0:7], v[30:31], v[32:33], v[0:7]
	s_add_u32 s34, s34, 4
	s_addc_u32 s35, s35, 0
	v_addc_co_u32_e32 v25, vcc, v25, v36, vcc
	v_mov_b32_e32 v36, s25
	v_add_co_u32_e32 v26, vcc, s24, v26
	v_addc_co_u32_e32 v27, vcc, v27, v36, vcc
	v_mov_b32_e32 v30, s27
	v_add_co_u32_e32 v28, vcc, s26, v28
	v_addc_co_u32_e32 v29, vcc, v29, v30, vcc
	v_pk_mov_b32 v[30:31], s[16:17], s[16:17] op_sel:[0,1]
	v_cmp_ge_i64_e32 vcc, s[34:35], v[30:31]
	s_cbranch_vccnz .LBB58_28
.LBB58_6:                               ; =>This Inner Loop Header: Depth=1
	s_and_b64 vcc, exec, s[14:15]
	s_cbranch_vccz .LBB58_18
; %bb.7:                                ;   in Loop: Header=BB58_6 Depth=1
	v_pk_mov_b32 v[30:31], 0, 0
	s_and_saveexec_b64 s[36:37], s[2:3]
	s_cbranch_execz .LBB58_11
; %bb.8:                                ;   in Loop: Header=BB58_6 Depth=1
	v_mov_b32_e32 v31, s35
	v_add_co_u32_e32 v30, vcc, s34, v10
	v_addc_co_u32_e32 v31, vcc, 0, v31, vcc
	v_cmp_gt_i64_e32 vcc, s[16:17], v[30:31]
	v_pk_mov_b32 v[30:31], 0, 0
	s_and_saveexec_b64 s[44:45], vcc
	s_cbranch_execz .LBB58_10
; %bb.9:                                ;   in Loop: Header=BB58_6 Depth=1
	global_load_dwordx2 v[30:31], v[24:25], off
.LBB58_10:                              ;   in Loop: Header=BB58_6 Depth=1
	s_or_b64 exec, exec, s[44:45]
.LBB58_11:                              ;   in Loop: Header=BB58_6 Depth=1
	s_or_b64 exec, exec, s[36:37]
	s_waitcnt vmcnt(0)
	ds_bpermute_b32 v30, v35, v30
	ds_bpermute_b32 v31, v35, v31
.LBB58_12:                              ;   in Loop: Header=BB58_6 Depth=1
	s_and_b64 vcc, exec, s[18:19]
	s_cbranch_vccz .LBB58_24
.LBB58_13:                              ;   in Loop: Header=BB58_6 Depth=1
	v_pk_mov_b32 v[32:33], 0, 0
	s_and_saveexec_b64 s[36:37], s[6:7]
	s_cbranch_execz .LBB58_17
; %bb.14:                               ;   in Loop: Header=BB58_6 Depth=1
	v_mov_b32_e32 v33, s35
	v_add_co_u32_e32 v32, vcc, s34, v20
	v_addc_co_u32_e32 v33, vcc, 0, v33, vcc
	v_cmp_gt_i64_e32 vcc, s[16:17], v[32:33]
	v_pk_mov_b32 v[32:33], 0, 0
	s_and_saveexec_b64 s[44:45], vcc
	s_cbranch_execz .LBB58_16
; %bb.15:                               ;   in Loop: Header=BB58_6 Depth=1
	global_load_dwordx2 v[32:33], v[28:29], off
.LBB58_16:                              ;   in Loop: Header=BB58_6 Depth=1
	s_or_b64 exec, exec, s[44:45]
.LBB58_17:                              ;   in Loop: Header=BB58_6 Depth=1
	s_or_b64 exec, exec, s[36:37]
	s_cbranch_execnz .LBB58_5
	s_branch .LBB58_25
.LBB58_18:                              ;   in Loop: Header=BB58_6 Depth=1
                                        ; implicit-def: $vgpr30_vgpr31
	s_cbranch_execz .LBB58_12
; %bb.19:                               ;   in Loop: Header=BB58_6 Depth=1
	s_waitcnt lgkmcnt(0)
	v_pk_mov_b32 v[30:31], 0, 0
	s_and_saveexec_b64 s[36:37], s[4:5]
	s_cbranch_execz .LBB58_23
; %bb.20:                               ;   in Loop: Header=BB58_6 Depth=1
	v_mov_b32_e32 v31, s35
	v_add_co_u32_e32 v30, vcc, s34, v20
	v_addc_co_u32_e32 v31, vcc, 0, v31, vcc
	v_cmp_gt_i64_e32 vcc, s[16:17], v[30:31]
	v_pk_mov_b32 v[30:31], 0, 0
	s_and_saveexec_b64 s[44:45], vcc
	s_cbranch_execz .LBB58_22
; %bb.21:                               ;   in Loop: Header=BB58_6 Depth=1
	global_load_dwordx2 v[30:31], v[22:23], off
.LBB58_22:                              ;   in Loop: Header=BB58_6 Depth=1
	s_or_b64 exec, exec, s[44:45]
.LBB58_23:                              ;   in Loop: Header=BB58_6 Depth=1
	s_or_b64 exec, exec, s[36:37]
	s_and_b64 vcc, exec, s[18:19]
	s_cbranch_vccnz .LBB58_13
.LBB58_24:                              ;   in Loop: Header=BB58_6 Depth=1
                                        ; implicit-def: $vgpr32_vgpr33
.LBB58_25:                              ;   in Loop: Header=BB58_6 Depth=1
	s_waitcnt vmcnt(0)
	v_pk_mov_b32 v[32:33], 0, 0
	s_and_saveexec_b64 s[36:37], s[0:1]
	s_cbranch_execz .LBB58_4
; %bb.26:                               ;   in Loop: Header=BB58_6 Depth=1
	v_mov_b32_e32 v33, s35
	v_add_co_u32_e32 v32, vcc, s34, v10
	v_addc_co_u32_e32 v33, vcc, 0, v33, vcc
	v_cmp_gt_i64_e32 vcc, s[16:17], v[32:33]
	v_pk_mov_b32 v[32:33], 0, 0
	s_and_saveexec_b64 s[44:45], vcc
	s_cbranch_execz .LBB58_3
; %bb.27:                               ;   in Loop: Header=BB58_6 Depth=1
	global_load_dwordx2 v[32:33], v[26:27], off
	s_branch .LBB58_3
.LBB58_28:
	s_mul_i32 s0, s8, s31
	s_mul_hi_u32 s1, s8, s30
	s_add_i32 s1, s1, s0
	s_mul_i32 s0, s8, s30
	s_lshl_b64 s[0:1], s[0:1], 3
	s_add_u32 s2, s38, s0
	s_addc_u32 s3, s39, s1
	s_lshl_b64 s[0:1], s[40:41], 3
	s_add_u32 s2, s2, s0
	s_addc_u32 s3, s3, s1
	v_mul_lo_u32 v20, v15, s28
	v_mul_lo_u32 v22, v14, s29
	v_mad_u64_u32 v[14:15], s[0:1], v14, s28, 0
	v_add3_u32 v15, v15, v22, v20
	v_mul_lo_u32 v20, v13, s42
	v_mul_lo_u32 v22, v12, s43
	v_mad_u64_u32 v[12:13], s[0:1], v12, s42, 0
	v_lshlrev_b64 v[14:15], 3, v[14:15]
	v_add3_u32 v13, v13, v22, v20
	v_mov_b32_e32 v20, s3
	v_add_co_u32_e32 v14, vcc, s2, v14
	v_addc_co_u32_e32 v15, vcc, v20, v15, vcc
	v_lshlrev_b64 v[12:13], 3, v[12:13]
	v_add_co_u32_e32 v20, vcc, v14, v12
	v_lshl_or_b32 v12, v21, 4, v18
	v_addc_co_u32_e32 v15, vcc, v15, v13, vcc
	v_mbcnt_hi_u32_b32 v13, -1, v34
	v_and_b32_e32 v12, 63, v12
	v_and_or_b32 v12, v13, 64, v12
	v_lshlrev_b32_e32 v14, 2, v12
	v_mad_u64_u32 v[12:13], s[0:1], v18, s28, 0
	v_cmp_lt_u64_e32 vcc, v[18:19], v[16:17]
	v_mov_b32_e32 v16, v13
	v_mad_u64_u32 v[16:17], s[0:1], v18, s29, v[16:17]
	v_mov_b32_e32 v13, v16
	v_lshlrev_b64 v[12:13], 3, v[12:13]
	ds_bpermute_b32 v0, v14, v0
	ds_bpermute_b32 v1, v14, v1
	v_add_co_u32_e64 v12, s[0:1], v20, v12
	v_addc_co_u32_e64 v13, s[0:1], v15, v13, s[0:1]
	v_cmp_lt_u64_e64 s[0:1], v[10:11], v[8:9]
	s_and_b64 s[0:1], vcc, s[0:1]
	s_and_saveexec_b64 s[2:3], s[0:1]
	s_cbranch_execz .LBB58_30
; %bb.29:
	v_mad_u64_u32 v[16:17], s[0:1], v10, s42, 0
	v_mov_b32_e32 v18, v17
	v_mad_u64_u32 v[18:19], s[0:1], v10, s43, v[18:19]
	v_mov_b32_e32 v17, v18
	v_lshlrev_b64 v[16:17], 3, v[16:17]
	v_add_co_u32_e64 v16, s[0:1], v12, v16
	v_addc_co_u32_e64 v17, s[0:1], v13, v17, s[0:1]
	global_load_dwordx2 v[18:19], v[16:17], off
	s_waitcnt vmcnt(0) lgkmcnt(0)
	v_mul_f64 v[18:19], s[12:13], v[18:19]
	v_fmac_f64_e32 v[18:19], s[10:11], v[0:1]
	global_store_dwordx2 v[16:17], v[18:19], off
.LBB58_30:
	s_or_b64 exec, exec, s[2:3]
	s_waitcnt lgkmcnt(0)
	ds_bpermute_b32 v0, v14, v2
	ds_bpermute_b32 v1, v14, v3
	v_or_b32_e32 v2, 4, v10
	v_mov_b32_e32 v3, v11
	v_cmp_lt_u64_e64 s[0:1], v[2:3], v[8:9]
	s_and_b64 s[0:1], vcc, s[0:1]
	s_and_saveexec_b64 s[2:3], s[0:1]
	s_cbranch_execz .LBB58_32
; %bb.31:
	v_mad_u64_u32 v[16:17], s[0:1], v2, s42, 0
	v_mov_b32_e32 v18, v17
	v_mad_u64_u32 v[2:3], s[0:1], v2, s43, v[18:19]
	v_mov_b32_e32 v17, v2
	v_lshlrev_b64 v[2:3], 3, v[16:17]
	v_add_co_u32_e64 v2, s[0:1], v12, v2
	v_addc_co_u32_e64 v3, s[0:1], v13, v3, s[0:1]
	global_load_dwordx2 v[16:17], v[2:3], off
	s_waitcnt vmcnt(0)
	v_mul_f64 v[16:17], s[12:13], v[16:17]
	s_waitcnt lgkmcnt(0)
	v_fmac_f64_e32 v[16:17], s[10:11], v[0:1]
	global_store_dwordx2 v[2:3], v[16:17], off
.LBB58_32:
	s_or_b64 exec, exec, s[2:3]
	s_waitcnt lgkmcnt(1)
	ds_bpermute_b32 v0, v14, v4
	s_waitcnt lgkmcnt(1)
	ds_bpermute_b32 v1, v14, v5
	v_or_b32_e32 v2, 8, v10
	v_mov_b32_e32 v3, v11
	v_cmp_lt_u64_e64 s[0:1], v[2:3], v[8:9]
	s_and_b64 s[0:1], vcc, s[0:1]
	s_and_saveexec_b64 s[2:3], s[0:1]
	s_cbranch_execz .LBB58_34
; %bb.33:
	v_mad_u64_u32 v[4:5], s[0:1], v2, s42, 0
	v_mov_b32_e32 v16, v5
	v_mad_u64_u32 v[2:3], s[0:1], v2, s43, v[16:17]
	v_mov_b32_e32 v5, v2
	v_lshlrev_b64 v[2:3], 3, v[4:5]
	v_add_co_u32_e64 v2, s[0:1], v12, v2
	v_addc_co_u32_e64 v3, s[0:1], v13, v3, s[0:1]
	global_load_dwordx2 v[4:5], v[2:3], off
	s_waitcnt vmcnt(0)
	v_mul_f64 v[4:5], s[12:13], v[4:5]
	s_waitcnt lgkmcnt(0)
	v_fmac_f64_e32 v[4:5], s[10:11], v[0:1]
	global_store_dwordx2 v[2:3], v[4:5], off
.LBB58_34:
	s_or_b64 exec, exec, s[2:3]
	s_waitcnt lgkmcnt(1)
	ds_bpermute_b32 v0, v14, v6
	s_waitcnt lgkmcnt(1)
	ds_bpermute_b32 v1, v14, v7
	v_or_b32_e32 v10, 12, v10
	v_cmp_lt_u64_e64 s[0:1], v[10:11], v[8:9]
	s_and_b64 s[0:1], vcc, s[0:1]
	s_and_b64 exec, exec, s[0:1]
	s_cbranch_execz .LBB58_36
; %bb.35:
	v_mad_u64_u32 v[2:3], s[0:1], v10, s42, 0
	v_mov_b32_e32 v4, v3
	v_mad_u64_u32 v[4:5], s[0:1], v10, s43, v[4:5]
	v_mov_b32_e32 v3, v4
	v_lshlrev_b64 v[2:3], 3, v[2:3]
	v_add_co_u32_e32 v2, vcc, v12, v2
	v_addc_co_u32_e32 v3, vcc, v13, v3, vcc
	global_load_dwordx2 v[4:5], v[2:3], off
	s_waitcnt vmcnt(0)
	v_mul_f64 v[4:5], s[12:13], v[4:5]
	s_waitcnt lgkmcnt(0)
	v_fmac_f64_e32 v[4:5], s[10:11], v[0:1]
	global_store_dwordx2 v[2:3], v[4:5], off
.LBB58_36:
	s_endpgm
	.section	.rodata,"a",@progbits
	.p2align	6, 0x0
	.amdhsa_kernel _ZN9rocsolver6v33100L16mfma_gemm_kernelIdlPKdPdPKS4_S4_EEv18rocblas_operation_S7_T0_S8_S8_T1_T2_lS8_S8_lT3_lS8_S8_lS9_T4_lS8_S8_l
		.amdhsa_group_segment_fixed_size 0
		.amdhsa_private_segment_fixed_size 0
		.amdhsa_kernarg_size 424
		.amdhsa_user_sgpr_count 6
		.amdhsa_user_sgpr_private_segment_buffer 1
		.amdhsa_user_sgpr_dispatch_ptr 0
		.amdhsa_user_sgpr_queue_ptr 0
		.amdhsa_user_sgpr_kernarg_segment_ptr 1
		.amdhsa_user_sgpr_dispatch_id 0
		.amdhsa_user_sgpr_flat_scratch_init 0
		.amdhsa_user_sgpr_kernarg_preload_length 0
		.amdhsa_user_sgpr_kernarg_preload_offset 0
		.amdhsa_user_sgpr_private_segment_size 0
		.amdhsa_uses_dynamic_stack 0
		.amdhsa_system_sgpr_private_segment_wavefront_offset 0
		.amdhsa_system_sgpr_workgroup_id_x 1
		.amdhsa_system_sgpr_workgroup_id_y 1
		.amdhsa_system_sgpr_workgroup_id_z 1
		.amdhsa_system_sgpr_workgroup_info 0
		.amdhsa_system_vgpr_workitem_id 1
		.amdhsa_next_free_vgpr 37
		.amdhsa_next_free_sgpr 52
		.amdhsa_accum_offset 40
		.amdhsa_reserve_vcc 1
		.amdhsa_reserve_flat_scratch 0
		.amdhsa_float_round_mode_32 0
		.amdhsa_float_round_mode_16_64 0
		.amdhsa_float_denorm_mode_32 3
		.amdhsa_float_denorm_mode_16_64 3
		.amdhsa_dx10_clamp 1
		.amdhsa_ieee_mode 1
		.amdhsa_fp16_overflow 0
		.amdhsa_tg_split 0
		.amdhsa_exception_fp_ieee_invalid_op 0
		.amdhsa_exception_fp_denorm_src 0
		.amdhsa_exception_fp_ieee_div_zero 0
		.amdhsa_exception_fp_ieee_overflow 0
		.amdhsa_exception_fp_ieee_underflow 0
		.amdhsa_exception_fp_ieee_inexact 0
		.amdhsa_exception_int_div_zero 0
	.end_amdhsa_kernel
	.section	.text._ZN9rocsolver6v33100L16mfma_gemm_kernelIdlPKdPdPKS4_S4_EEv18rocblas_operation_S7_T0_S8_S8_T1_T2_lS8_S8_lT3_lS8_S8_lS9_T4_lS8_S8_l,"axG",@progbits,_ZN9rocsolver6v33100L16mfma_gemm_kernelIdlPKdPdPKS4_S4_EEv18rocblas_operation_S7_T0_S8_S8_T1_T2_lS8_S8_lT3_lS8_S8_lS9_T4_lS8_S8_l,comdat
.Lfunc_end58:
	.size	_ZN9rocsolver6v33100L16mfma_gemm_kernelIdlPKdPdPKS4_S4_EEv18rocblas_operation_S7_T0_S8_S8_T1_T2_lS8_S8_lT3_lS8_S8_lS9_T4_lS8_S8_l, .Lfunc_end58-_ZN9rocsolver6v33100L16mfma_gemm_kernelIdlPKdPdPKS4_S4_EEv18rocblas_operation_S7_T0_S8_S8_T1_T2_lS8_S8_lT3_lS8_S8_lS9_T4_lS8_S8_l
                                        ; -- End function
	.section	.AMDGPU.csdata,"",@progbits
; Kernel info:
; codeLenInByte = 2204
; NumSgprs: 56
; NumVgprs: 37
; NumAgprs: 0
; TotalNumVgprs: 37
; ScratchSize: 0
; MemoryBound: 0
; FloatMode: 240
; IeeeMode: 1
; LDSByteSize: 0 bytes/workgroup (compile time only)
; SGPRBlocks: 6
; VGPRBlocks: 4
; NumSGPRsForWavesPerEU: 56
; NumVGPRsForWavesPerEU: 37
; AccumOffset: 40
; Occupancy: 8
; WaveLimiterHint : 1
; COMPUTE_PGM_RSRC2:SCRATCH_EN: 0
; COMPUTE_PGM_RSRC2:USER_SGPR: 6
; COMPUTE_PGM_RSRC2:TRAP_HANDLER: 0
; COMPUTE_PGM_RSRC2:TGID_X_EN: 1
; COMPUTE_PGM_RSRC2:TGID_Y_EN: 1
; COMPUTE_PGM_RSRC2:TGID_Z_EN: 1
; COMPUTE_PGM_RSRC2:TIDIG_COMP_CNT: 1
; COMPUTE_PGM_RSRC3_GFX90A:ACCUM_OFFSET: 9
; COMPUTE_PGM_RSRC3_GFX90A:TG_SPLIT: 0
	.section	.text._ZN9rocsolver6v33100L16mfma_gemm_kernelIdldPdPKS2_S2_EEv18rocblas_operation_S5_T0_S6_S6_T1_T2_lS6_S6_lT3_lS6_S6_lS7_T4_lS6_S6_l,"axG",@progbits,_ZN9rocsolver6v33100L16mfma_gemm_kernelIdldPdPKS2_S2_EEv18rocblas_operation_S5_T0_S6_S6_T1_T2_lS6_S6_lT3_lS6_S6_lS7_T4_lS6_S6_l,comdat
	.globl	_ZN9rocsolver6v33100L16mfma_gemm_kernelIdldPdPKS2_S2_EEv18rocblas_operation_S5_T0_S6_S6_T1_T2_lS6_S6_lT3_lS6_S6_lS7_T4_lS6_S6_l ; -- Begin function _ZN9rocsolver6v33100L16mfma_gemm_kernelIdldPdPKS2_S2_EEv18rocblas_operation_S5_T0_S6_S6_T1_T2_lS6_S6_lT3_lS6_S6_lS7_T4_lS6_S6_l
	.p2align	8
	.type	_ZN9rocsolver6v33100L16mfma_gemm_kernelIdldPdPKS2_S2_EEv18rocblas_operation_S5_T0_S6_S6_T1_T2_lS6_S6_lT3_lS6_S6_lS7_T4_lS6_S6_l,@function
_ZN9rocsolver6v33100L16mfma_gemm_kernelIdldPdPKS2_S2_EEv18rocblas_operation_S5_T0_S6_S6_T1_T2_lS6_S6_lT3_lS6_S6_lS7_T4_lS6_S6_l: ; @_ZN9rocsolver6v33100L16mfma_gemm_kernelIdldPdPKS2_S2_EEv18rocblas_operation_S5_T0_S6_S6_T1_T2_lS6_S6_lT3_lS6_S6_lS7_T4_lS6_S6_l
; %bb.0:
	s_load_dword s0, s[4:5], 0xb4
	s_load_dwordx16 s[12:27], s[4:5], 0x8
	v_and_b32_e32 v1, 0x3ff, v0
	v_lshrrev_b32_e32 v8, 6, v1
	v_mov_b32_e32 v9, 0
	s_waitcnt lgkmcnt(0)
	s_lshr_b32 s2, s0, 16
	s_bfe_u32 s0, s0, 0xa0006
	v_bfe_u32 v2, v0, 10, 10
	v_mov_b32_e32 v0, s6
	v_mov_b32_e32 v3, v9
	v_mad_u64_u32 v[22:23], s[0:1], s0, v0, v[8:9]
	v_mov_b32_e32 v0, s7
	v_mad_u64_u32 v[26:27], s[0:1], s2, v0, v[2:3]
	v_lshlrev_b64 v[12:13], 4, v[22:23]
	v_lshlrev_b64 v[14:15], 4, v[26:27]
	v_cmp_gt_i64_e32 vcc, s[12:13], v[12:13]
	v_cmp_gt_i64_e64 s[0:1], s[14:15], v[14:15]
	s_and_b64 s[0:1], vcc, s[0:1]
	s_and_saveexec_b64 s[2:3], s[0:1]
	s_cbranch_execz .LBB59_36
; %bb.1:
	v_add_co_u32_e32 v2, vcc, 16, v12
	v_addc_co_u32_e32 v3, vcc, 0, v13, vcc
	s_and_b32 s0, s12, 15
	v_mov_b32_e32 v0, s0
	v_cmp_lt_u64_e32 vcc, s[12:13], v[2:3]
	v_cndmask_b32_e32 v8, 16, v0, vcc
	v_add_co_u32_e32 v2, vcc, 16, v14
	v_addc_co_u32_e32 v3, vcc, 0, v15, vcc
	s_and_b32 s0, s14, 15
	v_mov_b32_e32 v0, s0
	v_cmp_lt_u64_e32 vcc, s[14:15], v[2:3]
	v_cndmask_b32_e32 v16, 16, v0, vcc
	v_mov_b32_e32 v17, v9
	v_bfe_u32 v18, v1, 2, 4
	v_mov_b32_e32 v19, v9
	v_cmp_lt_i64_e64 s[0:1], s[16:17], 1
	v_pk_mov_b32 v[6:7], 0, 0
	s_mov_b32 s9, 0
	v_and_b32_e32 v21, 63, v1
	v_and_b32_e32 v10, 3, v1
	v_mov_b32_e32 v11, v9
	s_and_b64 vcc, exec, s[0:1]
	v_cmp_lt_u64_e64 s[0:1], v[18:19], v[16:17]
	v_mbcnt_lo_u32_b32 v34, -1, 0
	v_pk_mov_b32 v[4:5], v[6:7], v[6:7] op_sel:[0,1]
	v_pk_mov_b32 v[2:3], v[6:7], v[6:7] op_sel:[0,1]
	;; [unrolled: 1-line block ×3, first 2 shown]
	s_cbranch_vccnz .LBB59_28
; %bb.2:
	s_load_dwordx2 s[2:3], s[4:5], 0x0
	s_load_dwordx8 s[36:43], s[4:5], 0x48
	s_load_dwordx2 s[28:29], s[4:5], 0x68
	v_mov_b32_e32 v1, 0
	v_and_b32_e32 v0, 15, v21
	s_waitcnt lgkmcnt(0)
	s_cmpk_lg_i32 s2, 0x6f
	s_cselect_b64 s[12:13], -1, 0
	s_cmpk_lg_i32 s3, 0x6f
	s_cselect_b64 s[14:15], -1, 0
	s_lshl_b64 s[6:7], s[8:9], 3
	s_add_u32 s6, s38, s6
	s_addc_u32 s7, s39, s7
	s_cmpk_eq_i32 s3, 0x6f
	s_cselect_b32 s9, s28, s42
	s_cselect_b32 s33, s29, s43
	s_cmpk_eq_i32 s2, 0x6f
	s_cselect_b32 s34, s24, s26
	s_cselect_b32 s35, s25, s27
	v_lshrrev_b32_e32 v20, 4, v21
	s_load_dwordx2 s[30:31], s[6:7], 0x0
	v_cmp_lt_u64_e64 s[6:7], v[0:1], v[8:9]
	v_cmp_lt_u64_e64 s[10:11], v[0:1], v[16:17]
	v_mul_lo_u32 v1, s35, v22
	v_mul_lo_u32 v4, s34, v23
	v_mad_u64_u32 v[2:3], s[34:35], s34, v22, 0
	v_add3_u32 v3, v3, v4, v1
	v_mad_u64_u32 v[4:5], s[34:35], s26, v20, 0
	v_mov_b32_e32 v6, v5
	v_mad_u64_u32 v[6:7], s[34:35], s27, v20, v[6:7]
	v_mov_b32_e32 v5, v6
	v_lshlrev_b64 v[2:3], 7, v[2:3]
	v_lshlrev_b64 v[4:5], 3, v[4:5]
	s_mul_i32 s34, s37, s8
	s_mul_hi_u32 s35, s36, s8
	v_add_co_u32_e32 v1, vcc, v2, v4
	s_add_i32 s35, s35, s34
	s_mul_i32 s34, s36, s8
	v_addc_co_u32_e32 v4, vcc, v3, v5, vcc
	s_lshl_b64 s[34:35], s[34:35], 3
	v_mov_b32_e32 v24, s35
	v_add_co_u32_e32 v1, vcc, s34, v1
	v_addc_co_u32_e32 v22, vcc, v4, v24, vcc
	v_mad_u64_u32 v[4:5], s[36:37], s24, v0, 0
	v_mov_b32_e32 v6, v5
	v_mad_u64_u32 v[6:7], s[36:37], s25, v0, v[6:7]
	v_mov_b32_e32 v5, v6
	v_lshlrev_b64 v[4:5], 3, v[4:5]
	s_lshl_b64 s[22:23], s[22:23], 3
	v_add_co_u32_e32 v1, vcc, v1, v4
	s_add_u32 s35, s20, s22
	v_addc_co_u32_e32 v4, vcc, v22, v5, vcc
	s_addc_u32 s36, s21, s23
	v_mov_b32_e32 v5, s36
	v_add_co_u32_e32 v22, vcc, s35, v1
	v_addc_co_u32_e32 v23, vcc, v5, v4, vcc
	v_mad_u64_u32 v[4:5], s[22:23], s26, v18, 0
	v_mov_b32_e32 v6, v5
	v_mad_u64_u32 v[6:7], s[22:23], s27, v18, v[6:7]
	v_mov_b32_e32 v5, v6
	v_lshlrev_b64 v[4:5], 3, v[4:5]
	v_add_co_u32_e32 v1, vcc, v2, v4
	v_addc_co_u32_e32 v2, vcc, v3, v5, vcc
	v_add_co_u32_e32 v1, vcc, s34, v1
	v_addc_co_u32_e32 v6, vcc, v2, v24, vcc
	v_mad_u64_u32 v[2:3], s[22:23], s24, v10, 0
	v_mov_b32_e32 v4, v3
	v_mad_u64_u32 v[4:5], s[22:23], s25, v10, v[4:5]
	v_mov_b32_e32 v3, v4
	v_lshlrev_b64 v[2:3], 3, v[2:3]
	v_add_co_u32_e32 v1, vcc, v1, v2
	v_addc_co_u32_e32 v2, vcc, v6, v3, vcc
	v_mov_b32_e32 v3, s36
	v_add_co_u32_e32 v24, vcc, s35, v1
	v_addc_co_u32_e32 v25, vcc, v3, v2, vcc
	s_lshl_b64 s[22:23], s[24:25], 5
	v_mul_lo_u32 v1, s33, v26
	v_mul_lo_u32 v4, s9, v27
	v_mad_u64_u32 v[2:3], s[24:25], s9, v26, 0
	v_add3_u32 v3, v3, v4, v1
	v_mad_u64_u32 v[4:5], s[24:25], s28, v18, 0
	v_mov_b32_e32 v6, v5
	v_mad_u64_u32 v[6:7], s[24:25], s29, v18, v[6:7]
	v_mov_b32_e32 v5, v6
	v_lshlrev_b64 v[2:3], 7, v[2:3]
	v_lshlrev_b64 v[4:5], 3, v[4:5]
	v_add_co_u32_e32 v1, vcc, v2, v4
	v_addc_co_u32_e32 v26, vcc, v3, v5, vcc
	v_mad_u64_u32 v[4:5], s[24:25], s42, v10, 0
	v_mov_b32_e32 v6, v5
	v_mad_u64_u32 v[6:7], s[24:25], s43, v10, v[6:7]
	v_mov_b32_e32 v5, v6
	s_lshl_b64 s[20:21], s[26:27], 5
	v_lshlrev_b64 v[4:5], 3, v[4:5]
	s_lshl_b64 s[24:25], s[40:41], 3
	v_add_co_u32_e32 v1, vcc, v1, v4
	s_waitcnt lgkmcnt(0)
	s_add_u32 s9, s30, s24
	v_addc_co_u32_e32 v4, vcc, v26, v5, vcc
	s_addc_u32 s30, s31, s25
	v_mov_b32_e32 v5, s30
	v_add_co_u32_e32 v26, vcc, s9, v1
	v_addc_co_u32_e32 v27, vcc, v5, v4, vcc
	v_mad_u64_u32 v[4:5], s[26:27], s28, v20, 0
	v_mov_b32_e32 v6, v5
	v_mad_u64_u32 v[6:7], s[26:27], s29, v20, v[6:7]
	v_mov_b32_e32 v5, v6
	v_lshlrev_b64 v[4:5], 3, v[4:5]
	v_add_co_u32_e32 v6, vcc, v2, v4
	v_addc_co_u32_e32 v5, vcc, v3, v5, vcc
	v_mad_u64_u32 v[2:3], s[26:27], s42, v0, 0
	v_mov_b32_e32 v4, v3
	v_lshl_or_b32 v30, v0, 2, v20
	v_mad_u64_u32 v[0:1], s[26:27], s43, v0, v[4:5]
	v_mov_b32_e32 v3, v0
	v_lshlrev_b64 v[0:1], 3, v[2:3]
	v_add_co_u32_e32 v0, vcc, v6, v0
	v_addc_co_u32_e32 v1, vcc, v5, v1, vcc
	v_mov_b32_e32 v2, s30
	v_add_co_u32_e32 v28, vcc, s9, v0
	v_addc_co_u32_e32 v29, vcc, v2, v1, vcc
	v_mbcnt_hi_u32_b32 v2, -1, v34
	v_pk_mov_b32 v[0:1], 0, 0
	v_and_or_b32 v2, v2, 64, v30
	v_cmp_lt_u64_e64 s[2:3], v[18:19], v[8:9]
	s_lshl_b64 s[24:25], s[42:43], 5
	s_lshl_b64 s[26:27], s[28:29], 5
	s_mov_b64 s[28:29], 0
	v_lshlrev_b32_e32 v35, 2, v2
	v_pk_mov_b32 v[2:3], v[0:1], v[0:1] op_sel:[0,1]
	v_pk_mov_b32 v[4:5], v[0:1], v[0:1] op_sel:[0,1]
	;; [unrolled: 1-line block ×3, first 2 shown]
	s_branch .LBB59_6
.LBB59_3:                               ;   in Loop: Header=BB59_6 Depth=1
	s_or_b64 exec, exec, s[34:35]
.LBB59_4:                               ;   in Loop: Header=BB59_6 Depth=1
	s_or_b64 exec, exec, s[30:31]
	s_waitcnt vmcnt(0)
	ds_bpermute_b32 v32, v35, v32
	ds_bpermute_b32 v33, v35, v33
.LBB59_5:                               ;   in Loop: Header=BB59_6 Depth=1
	v_mov_b32_e32 v36, s21
	v_add_co_u32_e32 v22, vcc, s20, v22
	v_addc_co_u32_e32 v23, vcc, v23, v36, vcc
	v_mov_b32_e32 v36, s23
	v_add_co_u32_e32 v24, vcc, s22, v24
	s_waitcnt vmcnt(0) lgkmcnt(0)
	v_mfma_f64_16x16x4f64 v[0:7], v[30:31], v[32:33], v[0:7]
	s_add_u32 s28, s28, 4
	s_addc_u32 s29, s29, 0
	v_addc_co_u32_e32 v25, vcc, v25, v36, vcc
	v_mov_b32_e32 v36, s25
	v_add_co_u32_e32 v26, vcc, s24, v26
	v_addc_co_u32_e32 v27, vcc, v27, v36, vcc
	v_mov_b32_e32 v30, s27
	v_add_co_u32_e32 v28, vcc, s26, v28
	v_addc_co_u32_e32 v29, vcc, v29, v30, vcc
	v_pk_mov_b32 v[30:31], s[16:17], s[16:17] op_sel:[0,1]
	v_cmp_ge_i64_e32 vcc, s[28:29], v[30:31]
	s_cbranch_vccnz .LBB59_28
.LBB59_6:                               ; =>This Inner Loop Header: Depth=1
	s_and_b64 vcc, exec, s[12:13]
	s_cbranch_vccz .LBB59_18
; %bb.7:                                ;   in Loop: Header=BB59_6 Depth=1
	v_pk_mov_b32 v[30:31], 0, 0
	s_and_saveexec_b64 s[30:31], s[2:3]
	s_cbranch_execz .LBB59_11
; %bb.8:                                ;   in Loop: Header=BB59_6 Depth=1
	v_mov_b32_e32 v31, s29
	v_add_co_u32_e32 v30, vcc, s28, v10
	v_addc_co_u32_e32 v31, vcc, 0, v31, vcc
	v_cmp_gt_i64_e32 vcc, s[16:17], v[30:31]
	v_pk_mov_b32 v[30:31], 0, 0
	s_and_saveexec_b64 s[34:35], vcc
	s_cbranch_execz .LBB59_10
; %bb.9:                                ;   in Loop: Header=BB59_6 Depth=1
	global_load_dwordx2 v[30:31], v[24:25], off
.LBB59_10:                              ;   in Loop: Header=BB59_6 Depth=1
	s_or_b64 exec, exec, s[34:35]
.LBB59_11:                              ;   in Loop: Header=BB59_6 Depth=1
	s_or_b64 exec, exec, s[30:31]
	s_waitcnt vmcnt(0)
	ds_bpermute_b32 v30, v35, v30
	ds_bpermute_b32 v31, v35, v31
.LBB59_12:                              ;   in Loop: Header=BB59_6 Depth=1
	s_and_b64 vcc, exec, s[14:15]
	s_cbranch_vccz .LBB59_24
.LBB59_13:                              ;   in Loop: Header=BB59_6 Depth=1
	v_pk_mov_b32 v[32:33], 0, 0
	s_and_saveexec_b64 s[30:31], s[10:11]
	s_cbranch_execz .LBB59_17
; %bb.14:                               ;   in Loop: Header=BB59_6 Depth=1
	v_mov_b32_e32 v33, s29
	v_add_co_u32_e32 v32, vcc, s28, v20
	v_addc_co_u32_e32 v33, vcc, 0, v33, vcc
	v_cmp_gt_i64_e32 vcc, s[16:17], v[32:33]
	v_pk_mov_b32 v[32:33], 0, 0
	s_and_saveexec_b64 s[34:35], vcc
	s_cbranch_execz .LBB59_16
; %bb.15:                               ;   in Loop: Header=BB59_6 Depth=1
	global_load_dwordx2 v[32:33], v[28:29], off
.LBB59_16:                              ;   in Loop: Header=BB59_6 Depth=1
	s_or_b64 exec, exec, s[34:35]
.LBB59_17:                              ;   in Loop: Header=BB59_6 Depth=1
	s_or_b64 exec, exec, s[30:31]
	s_cbranch_execnz .LBB59_5
	s_branch .LBB59_25
.LBB59_18:                              ;   in Loop: Header=BB59_6 Depth=1
                                        ; implicit-def: $vgpr30_vgpr31
	s_cbranch_execz .LBB59_12
; %bb.19:                               ;   in Loop: Header=BB59_6 Depth=1
	s_waitcnt lgkmcnt(0)
	v_pk_mov_b32 v[30:31], 0, 0
	s_and_saveexec_b64 s[30:31], s[6:7]
	s_cbranch_execz .LBB59_23
; %bb.20:                               ;   in Loop: Header=BB59_6 Depth=1
	v_mov_b32_e32 v31, s29
	v_add_co_u32_e32 v30, vcc, s28, v20
	v_addc_co_u32_e32 v31, vcc, 0, v31, vcc
	v_cmp_gt_i64_e32 vcc, s[16:17], v[30:31]
	v_pk_mov_b32 v[30:31], 0, 0
	s_and_saveexec_b64 s[34:35], vcc
	s_cbranch_execz .LBB59_22
; %bb.21:                               ;   in Loop: Header=BB59_6 Depth=1
	global_load_dwordx2 v[30:31], v[22:23], off
.LBB59_22:                              ;   in Loop: Header=BB59_6 Depth=1
	s_or_b64 exec, exec, s[34:35]
.LBB59_23:                              ;   in Loop: Header=BB59_6 Depth=1
	s_or_b64 exec, exec, s[30:31]
	s_and_b64 vcc, exec, s[14:15]
	s_cbranch_vccnz .LBB59_13
.LBB59_24:                              ;   in Loop: Header=BB59_6 Depth=1
                                        ; implicit-def: $vgpr32_vgpr33
.LBB59_25:                              ;   in Loop: Header=BB59_6 Depth=1
	s_waitcnt vmcnt(0)
	v_pk_mov_b32 v[32:33], 0, 0
	s_and_saveexec_b64 s[30:31], s[0:1]
	s_cbranch_execz .LBB59_4
; %bb.26:                               ;   in Loop: Header=BB59_6 Depth=1
	v_mov_b32_e32 v33, s29
	v_add_co_u32_e32 v32, vcc, s28, v10
	v_addc_co_u32_e32 v33, vcc, 0, v33, vcc
	v_cmp_gt_i64_e32 vcc, s[16:17], v[32:33]
	v_pk_mov_b32 v[32:33], 0, 0
	s_and_saveexec_b64 s[34:35], vcc
	s_cbranch_execz .LBB59_3
; %bb.27:                               ;   in Loop: Header=BB59_6 Depth=1
	global_load_dwordx2 v[32:33], v[26:27], off
	s_branch .LBB59_3
.LBB59_28:
	s_load_dwordx4 s[0:3], s[4:5], 0x98
	s_load_dwordx8 s[20:27], s[4:5], 0x78
	s_waitcnt lgkmcnt(0)
	s_mul_i32 s3, s8, s3
	s_mul_hi_u32 s4, s8, s2
	s_mul_i32 s2, s8, s2
	s_add_i32 s3, s4, s3
	s_lshl_b64 s[2:3], s[2:3], 3
	s_add_u32 s4, s22, s2
	s_addc_u32 s5, s23, s3
	s_lshl_b64 s[2:3], s[24:25], 3
	s_add_u32 s4, s4, s2
	s_addc_u32 s5, s5, s3
	v_mul_lo_u32 v20, v15, s0
	v_mul_lo_u32 v22, v14, s1
	v_mad_u64_u32 v[14:15], s[2:3], v14, s0, 0
	v_add3_u32 v15, v15, v22, v20
	v_mul_lo_u32 v20, v13, s26
	v_mul_lo_u32 v22, v12, s27
	v_mad_u64_u32 v[12:13], s[2:3], v12, s26, 0
	v_lshlrev_b64 v[14:15], 3, v[14:15]
	v_add3_u32 v13, v13, v22, v20
	v_mov_b32_e32 v20, s5
	v_add_co_u32_e32 v14, vcc, s4, v14
	v_addc_co_u32_e32 v15, vcc, v20, v15, vcc
	v_lshlrev_b64 v[12:13], 3, v[12:13]
	v_add_co_u32_e32 v20, vcc, v14, v12
	v_lshl_or_b32 v12, v21, 4, v18
	v_addc_co_u32_e32 v15, vcc, v15, v13, vcc
	v_mbcnt_hi_u32_b32 v13, -1, v34
	v_and_b32_e32 v12, 63, v12
	v_and_or_b32 v12, v13, 64, v12
	v_lshlrev_b32_e32 v14, 2, v12
	v_mad_u64_u32 v[12:13], s[2:3], v18, s0, 0
	v_cmp_lt_u64_e32 vcc, v[18:19], v[16:17]
	v_mov_b32_e32 v16, v13
	v_mad_u64_u32 v[16:17], s[0:1], v18, s1, v[16:17]
	v_mov_b32_e32 v13, v16
	v_lshlrev_b64 v[12:13], 3, v[12:13]
	ds_bpermute_b32 v0, v14, v0
	ds_bpermute_b32 v1, v14, v1
	v_add_co_u32_e64 v12, s[0:1], v20, v12
	v_addc_co_u32_e64 v13, s[0:1], v15, v13, s[0:1]
	v_cmp_lt_u64_e64 s[0:1], v[10:11], v[8:9]
	s_and_b64 s[0:1], vcc, s[0:1]
	s_and_saveexec_b64 s[2:3], s[0:1]
	s_cbranch_execz .LBB59_30
; %bb.29:
	v_mad_u64_u32 v[16:17], s[0:1], v10, s26, 0
	v_mov_b32_e32 v18, v17
	v_mad_u64_u32 v[18:19], s[0:1], v10, s27, v[18:19]
	v_mov_b32_e32 v17, v18
	v_lshlrev_b64 v[16:17], 3, v[16:17]
	v_add_co_u32_e64 v16, s[0:1], v12, v16
	v_addc_co_u32_e64 v17, s[0:1], v13, v17, s[0:1]
	global_load_dwordx2 v[18:19], v[16:17], off
	s_waitcnt vmcnt(0)
	v_mul_f64 v[18:19], v[18:19], s[20:21]
	s_waitcnt lgkmcnt(0)
	v_fmac_f64_e32 v[18:19], s[18:19], v[0:1]
	global_store_dwordx2 v[16:17], v[18:19], off
.LBB59_30:
	s_or_b64 exec, exec, s[2:3]
	s_waitcnt lgkmcnt(1)
	ds_bpermute_b32 v0, v14, v2
	s_waitcnt lgkmcnt(1)
	ds_bpermute_b32 v1, v14, v3
	v_or_b32_e32 v2, 4, v10
	v_mov_b32_e32 v3, v11
	v_cmp_lt_u64_e64 s[0:1], v[2:3], v[8:9]
	s_and_b64 s[0:1], vcc, s[0:1]
	s_and_saveexec_b64 s[2:3], s[0:1]
	s_cbranch_execz .LBB59_32
; %bb.31:
	v_mad_u64_u32 v[16:17], s[0:1], v2, s26, 0
	v_mov_b32_e32 v18, v17
	v_mad_u64_u32 v[2:3], s[0:1], v2, s27, v[18:19]
	v_mov_b32_e32 v17, v2
	v_lshlrev_b64 v[2:3], 3, v[16:17]
	v_add_co_u32_e64 v2, s[0:1], v12, v2
	v_addc_co_u32_e64 v3, s[0:1], v13, v3, s[0:1]
	global_load_dwordx2 v[16:17], v[2:3], off
	s_waitcnt vmcnt(0)
	v_mul_f64 v[16:17], v[16:17], s[20:21]
	s_waitcnt lgkmcnt(0)
	v_fmac_f64_e32 v[16:17], s[18:19], v[0:1]
	global_store_dwordx2 v[2:3], v[16:17], off
.LBB59_32:
	s_or_b64 exec, exec, s[2:3]
	s_waitcnt lgkmcnt(1)
	ds_bpermute_b32 v0, v14, v4
	s_waitcnt lgkmcnt(1)
	ds_bpermute_b32 v1, v14, v5
	v_or_b32_e32 v2, 8, v10
	v_mov_b32_e32 v3, v11
	v_cmp_lt_u64_e64 s[0:1], v[2:3], v[8:9]
	s_and_b64 s[0:1], vcc, s[0:1]
	s_and_saveexec_b64 s[2:3], s[0:1]
	s_cbranch_execz .LBB59_34
; %bb.33:
	v_mad_u64_u32 v[4:5], s[0:1], v2, s26, 0
	v_mov_b32_e32 v16, v5
	v_mad_u64_u32 v[2:3], s[0:1], v2, s27, v[16:17]
	v_mov_b32_e32 v5, v2
	v_lshlrev_b64 v[2:3], 3, v[4:5]
	v_add_co_u32_e64 v2, s[0:1], v12, v2
	v_addc_co_u32_e64 v3, s[0:1], v13, v3, s[0:1]
	global_load_dwordx2 v[4:5], v[2:3], off
	s_waitcnt vmcnt(0)
	v_mul_f64 v[4:5], v[4:5], s[20:21]
	s_waitcnt lgkmcnt(0)
	v_fmac_f64_e32 v[4:5], s[18:19], v[0:1]
	global_store_dwordx2 v[2:3], v[4:5], off
.LBB59_34:
	s_or_b64 exec, exec, s[2:3]
	s_waitcnt lgkmcnt(1)
	ds_bpermute_b32 v0, v14, v6
	s_waitcnt lgkmcnt(1)
	ds_bpermute_b32 v1, v14, v7
	v_or_b32_e32 v10, 12, v10
	v_cmp_lt_u64_e64 s[0:1], v[10:11], v[8:9]
	s_and_b64 s[0:1], vcc, s[0:1]
	s_and_b64 exec, exec, s[0:1]
	s_cbranch_execz .LBB59_36
; %bb.35:
	v_mad_u64_u32 v[2:3], s[0:1], v10, s26, 0
	v_mov_b32_e32 v4, v3
	v_mad_u64_u32 v[4:5], s[0:1], v10, s27, v[4:5]
	v_mov_b32_e32 v3, v4
	v_lshlrev_b64 v[2:3], 3, v[2:3]
	v_add_co_u32_e32 v2, vcc, v12, v2
	v_addc_co_u32_e32 v3, vcc, v13, v3, vcc
	global_load_dwordx2 v[4:5], v[2:3], off
	s_waitcnt vmcnt(0)
	v_mul_f64 v[4:5], v[4:5], s[20:21]
	s_waitcnt lgkmcnt(0)
	v_fmac_f64_e32 v[4:5], s[18:19], v[0:1]
	global_store_dwordx2 v[2:3], v[4:5], off
.LBB59_36:
	s_endpgm
	.section	.rodata,"a",@progbits
	.p2align	6, 0x0
	.amdhsa_kernel _ZN9rocsolver6v33100L16mfma_gemm_kernelIdldPdPKS2_S2_EEv18rocblas_operation_S5_T0_S6_S6_T1_T2_lS6_S6_lT3_lS6_S6_lS7_T4_lS6_S6_l
		.amdhsa_group_segment_fixed_size 0
		.amdhsa_private_segment_fixed_size 0
		.amdhsa_kernarg_size 424
		.amdhsa_user_sgpr_count 6
		.amdhsa_user_sgpr_private_segment_buffer 1
		.amdhsa_user_sgpr_dispatch_ptr 0
		.amdhsa_user_sgpr_queue_ptr 0
		.amdhsa_user_sgpr_kernarg_segment_ptr 1
		.amdhsa_user_sgpr_dispatch_id 0
		.amdhsa_user_sgpr_flat_scratch_init 0
		.amdhsa_user_sgpr_kernarg_preload_length 0
		.amdhsa_user_sgpr_kernarg_preload_offset 0
		.amdhsa_user_sgpr_private_segment_size 0
		.amdhsa_uses_dynamic_stack 0
		.amdhsa_system_sgpr_private_segment_wavefront_offset 0
		.amdhsa_system_sgpr_workgroup_id_x 1
		.amdhsa_system_sgpr_workgroup_id_y 1
		.amdhsa_system_sgpr_workgroup_id_z 1
		.amdhsa_system_sgpr_workgroup_info 0
		.amdhsa_system_vgpr_workitem_id 1
		.amdhsa_next_free_vgpr 37
		.amdhsa_next_free_sgpr 44
		.amdhsa_accum_offset 40
		.amdhsa_reserve_vcc 1
		.amdhsa_reserve_flat_scratch 0
		.amdhsa_float_round_mode_32 0
		.amdhsa_float_round_mode_16_64 0
		.amdhsa_float_denorm_mode_32 3
		.amdhsa_float_denorm_mode_16_64 3
		.amdhsa_dx10_clamp 1
		.amdhsa_ieee_mode 1
		.amdhsa_fp16_overflow 0
		.amdhsa_tg_split 0
		.amdhsa_exception_fp_ieee_invalid_op 0
		.amdhsa_exception_fp_denorm_src 0
		.amdhsa_exception_fp_ieee_div_zero 0
		.amdhsa_exception_fp_ieee_overflow 0
		.amdhsa_exception_fp_ieee_underflow 0
		.amdhsa_exception_fp_ieee_inexact 0
		.amdhsa_exception_int_div_zero 0
	.end_amdhsa_kernel
	.section	.text._ZN9rocsolver6v33100L16mfma_gemm_kernelIdldPdPKS2_S2_EEv18rocblas_operation_S5_T0_S6_S6_T1_T2_lS6_S6_lT3_lS6_S6_lS7_T4_lS6_S6_l,"axG",@progbits,_ZN9rocsolver6v33100L16mfma_gemm_kernelIdldPdPKS2_S2_EEv18rocblas_operation_S5_T0_S6_S6_T1_T2_lS6_S6_lT3_lS6_S6_lS7_T4_lS6_S6_l,comdat
.Lfunc_end59:
	.size	_ZN9rocsolver6v33100L16mfma_gemm_kernelIdldPdPKS2_S2_EEv18rocblas_operation_S5_T0_S6_S6_T1_T2_lS6_S6_lT3_lS6_S6_lS7_T4_lS6_S6_l, .Lfunc_end59-_ZN9rocsolver6v33100L16mfma_gemm_kernelIdldPdPKS2_S2_EEv18rocblas_operation_S5_T0_S6_S6_T1_T2_lS6_S6_lT3_lS6_S6_lS7_T4_lS6_S6_l
                                        ; -- End function
	.section	.AMDGPU.csdata,"",@progbits
; Kernel info:
; codeLenInByte = 2196
; NumSgprs: 48
; NumVgprs: 37
; NumAgprs: 0
; TotalNumVgprs: 37
; ScratchSize: 0
; MemoryBound: 0
; FloatMode: 240
; IeeeMode: 1
; LDSByteSize: 0 bytes/workgroup (compile time only)
; SGPRBlocks: 5
; VGPRBlocks: 4
; NumSGPRsForWavesPerEU: 48
; NumVGPRsForWavesPerEU: 37
; AccumOffset: 40
; Occupancy: 8
; WaveLimiterHint : 1
; COMPUTE_PGM_RSRC2:SCRATCH_EN: 0
; COMPUTE_PGM_RSRC2:USER_SGPR: 6
; COMPUTE_PGM_RSRC2:TRAP_HANDLER: 0
; COMPUTE_PGM_RSRC2:TGID_X_EN: 1
; COMPUTE_PGM_RSRC2:TGID_Y_EN: 1
; COMPUTE_PGM_RSRC2:TGID_Z_EN: 1
; COMPUTE_PGM_RSRC2:TIDIG_COMP_CNT: 1
; COMPUTE_PGM_RSRC3_GFX90A:ACCUM_OFFSET: 9
; COMPUTE_PGM_RSRC3_GFX90A:TG_SPLIT: 0
	.section	.text._ZN9rocsolver6v33100L11gemm_kernelIdlPKdPdPKS4_S4_EEvT0_S7_S7_T1_bT2_lS7_S7_lbT3_lS7_S7_lS8_T4_lS7_S7_l,"axG",@progbits,_ZN9rocsolver6v33100L11gemm_kernelIdlPKdPdPKS4_S4_EEvT0_S7_S7_T1_bT2_lS7_S7_lbT3_lS7_S7_lS8_T4_lS7_S7_l,comdat
	.globl	_ZN9rocsolver6v33100L11gemm_kernelIdlPKdPdPKS4_S4_EEvT0_S7_S7_T1_bT2_lS7_S7_lbT3_lS7_S7_lS8_T4_lS7_S7_l ; -- Begin function _ZN9rocsolver6v33100L11gemm_kernelIdlPKdPdPKS4_S4_EEvT0_S7_S7_T1_bT2_lS7_S7_lbT3_lS7_S7_lS8_T4_lS7_S7_l
	.p2align	8
	.type	_ZN9rocsolver6v33100L11gemm_kernelIdlPKdPdPKS4_S4_EEvT0_S7_S7_T1_bT2_lS7_S7_lbT3_lS7_S7_lS8_T4_lS7_S7_l,@function
_ZN9rocsolver6v33100L11gemm_kernelIdlPKdPdPKS4_S4_EEvT0_S7_S7_T1_bT2_lS7_S7_lbT3_lS7_S7_lS8_T4_lS7_S7_l: ; @_ZN9rocsolver6v33100L11gemm_kernelIdlPKdPdPKS4_S4_EEvT0_S7_S7_T1_bT2_lS7_S7_lbT3_lS7_S7_lS8_T4_lS7_S7_l
; %bb.0:
	s_load_dword s0, s[4:5], 0xbc
	s_load_dwordx8 s[12:19], s[4:5], 0x0
	v_and_b32_e32 v4, 0x3ff, v0
	v_mov_b32_e32 v5, 0
	v_mov_b32_e32 v1, s6
	s_waitcnt lgkmcnt(0)
	s_lshr_b32 s2, s0, 16
	s_and_b32 s0, s0, 0xffff
	v_mad_u64_u32 v[2:3], s[0:1], s0, v1, v[4:5]
	v_bfe_u32 v4, v0, 10, 10
	v_mov_b32_e32 v0, s7
	v_mad_u64_u32 v[0:1], s[0:1], s2, v0, v[4:5]
	v_cmp_gt_i64_e32 vcc, s[12:13], v[2:3]
	v_cmp_gt_i64_e64 s[0:1], s[14:15], v[0:1]
	s_mov_b32 s9, 0
	s_and_b64 s[0:1], vcc, s[0:1]
	s_and_saveexec_b64 s[2:3], s[0:1]
	s_cbranch_execz .LBB60_6
; %bb.1:
	s_load_dwordx8 s[20:27], s[4:5], 0x80
	s_load_dwordx4 s[0:3], s[4:5], 0xa0
	v_cmp_lt_i64_e64 s[6:7], s[16:17], 1
	s_and_b64 vcc, exec, s[6:7]
	s_cbranch_vccnz .LBB60_4
; %bb.2:
	s_load_dwordx8 s[36:43], s[4:5], 0x58
	s_load_dwordx2 s[6:7], s[4:5], 0x48
	s_load_dwordx8 s[44:51], s[4:5], 0x28
	s_lshl_b64 s[4:5], s[8:9], 3
	s_waitcnt lgkmcnt(0)
	s_add_u32 s4, s36, s4
	s_mul_i32 s7, s8, s7
	s_mul_hi_u32 s9, s8, s6
	s_addc_u32 s5, s37, s5
	s_add_i32 s7, s9, s7
	s_mul_i32 s6, s8, s6
	s_load_dwordx2 s[4:5], s[4:5], 0x0
	s_lshl_b64 s[6:7], s[6:7], 3
	s_add_u32 s9, s44, s6
	s_addc_u32 s10, s45, s7
	s_lshl_b64 s[6:7], s[46:47], 3
	s_add_u32 s9, s9, s6
	s_addc_u32 s10, s10, s7
	s_lshl_b64 s[6:7], s[38:39], 3
	s_waitcnt lgkmcnt(0)
	s_add_u32 s6, s4, s6
	s_addc_u32 s7, s5, s7
	v_mul_lo_u32 v6, v3, s48
	v_mul_lo_u32 v7, v2, s49
	v_mad_u64_u32 v[4:5], s[4:5], v2, s48, 0
	v_add3_u32 v5, v5, v7, v6
	v_lshlrev_b64 v[4:5], 3, v[4:5]
	v_mov_b32_e32 v7, s10
	v_add_co_u32_e32 v6, vcc, s9, v4
	v_addc_co_u32_e32 v7, vcc, v7, v5, vcc
	v_mul_lo_u32 v8, v1, s42
	v_mul_lo_u32 v9, v0, s43
	v_mad_u64_u32 v[4:5], s[4:5], v0, s42, 0
	v_add3_u32 v5, v5, v9, v8
	v_lshlrev_b64 v[4:5], 3, v[4:5]
	v_mov_b32_e32 v9, s7
	v_add_co_u32_e32 v8, vcc, s6, v4
	s_lshl_b64 s[4:5], s[40:41], 3
	s_lshl_b64 s[6:7], s[50:51], 3
	v_addc_co_u32_e32 v9, vcc, v9, v5, vcc
	v_pk_mov_b32 v[4:5], 0, 0
	v_mov_b32_e32 v10, s5
	v_mov_b32_e32 v11, s7
.LBB60_3:                               ; =>This Inner Loop Header: Depth=1
	global_load_dwordx2 v[12:13], v[6:7], off
	global_load_dwordx2 v[14:15], v[8:9], off
	v_add_co_u32_e32 v8, vcc, s4, v8
	v_addc_co_u32_e32 v9, vcc, v9, v10, vcc
	s_add_u32 s16, s16, -1
	v_add_co_u32_e32 v6, vcc, s6, v6
	s_addc_u32 s17, s17, -1
	v_addc_co_u32_e32 v7, vcc, v7, v11, vcc
	s_cmp_eq_u64 s[16:17], 0
	s_waitcnt vmcnt(0)
	v_fmac_f64_e32 v[4:5], v[12:13], v[14:15]
	s_cbranch_scc0 .LBB60_3
	s_branch .LBB60_5
.LBB60_4:
	v_pk_mov_b32 v[4:5], 0, 0
.LBB60_5:
	s_waitcnt lgkmcnt(0)
	s_mul_i32 s3, s8, s3
	s_mul_hi_u32 s9, s8, s2
	s_add_i32 s3, s9, s3
	s_mul_i32 s2, s8, s2
	s_lshl_b64 s[2:3], s[2:3], 3
	s_add_u32 s8, s22, s2
	s_addc_u32 s9, s23, s3
	s_lshl_b64 s[2:3], s[24:25], 3
	s_add_u32 s8, s8, s2
	s_addc_u32 s9, s9, s3
	v_mul_lo_u32 v6, v3, s26
	v_mul_lo_u32 v7, v2, s27
	v_mad_u64_u32 v[2:3], s[2:3], v2, s26, 0
	v_add3_u32 v3, v3, v7, v6
	v_mul_lo_u32 v6, v1, s0
	v_mul_lo_u32 v7, v0, s1
	v_mad_u64_u32 v[0:1], s[0:1], v0, s0, 0
	v_lshlrev_b64 v[2:3], 3, v[2:3]
	v_add3_u32 v1, v1, v7, v6
	v_mov_b32_e32 v6, s9
	v_add_co_u32_e32 v2, vcc, s8, v2
	v_addc_co_u32_e32 v3, vcc, v6, v3, vcc
	v_lshlrev_b64 v[0:1], 3, v[0:1]
	v_add_co_u32_e32 v0, vcc, v2, v0
	v_addc_co_u32_e32 v1, vcc, v3, v1, vcc
	s_load_dwordx2 s[4:5], s[18:19], 0x0
	s_load_dwordx2 s[6:7], s[20:21], 0x0
	global_load_dwordx2 v[2:3], v[0:1], off
	s_waitcnt vmcnt(0) lgkmcnt(0)
	v_mul_f64 v[2:3], s[6:7], v[2:3]
	v_fmac_f64_e32 v[2:3], s[4:5], v[4:5]
	global_store_dwordx2 v[0:1], v[2:3], off
.LBB60_6:
	s_endpgm
	.section	.rodata,"a",@progbits
	.p2align	6, 0x0
	.amdhsa_kernel _ZN9rocsolver6v33100L11gemm_kernelIdlPKdPdPKS4_S4_EEvT0_S7_S7_T1_bT2_lS7_S7_lbT3_lS7_S7_lS8_T4_lS7_S7_l
		.amdhsa_group_segment_fixed_size 0
		.amdhsa_private_segment_fixed_size 0
		.amdhsa_kernarg_size 432
		.amdhsa_user_sgpr_count 6
		.amdhsa_user_sgpr_private_segment_buffer 1
		.amdhsa_user_sgpr_dispatch_ptr 0
		.amdhsa_user_sgpr_queue_ptr 0
		.amdhsa_user_sgpr_kernarg_segment_ptr 1
		.amdhsa_user_sgpr_dispatch_id 0
		.amdhsa_user_sgpr_flat_scratch_init 0
		.amdhsa_user_sgpr_kernarg_preload_length 0
		.amdhsa_user_sgpr_kernarg_preload_offset 0
		.amdhsa_user_sgpr_private_segment_size 0
		.amdhsa_uses_dynamic_stack 0
		.amdhsa_system_sgpr_private_segment_wavefront_offset 0
		.amdhsa_system_sgpr_workgroup_id_x 1
		.amdhsa_system_sgpr_workgroup_id_y 1
		.amdhsa_system_sgpr_workgroup_id_z 1
		.amdhsa_system_sgpr_workgroup_info 0
		.amdhsa_system_vgpr_workitem_id 1
		.amdhsa_next_free_vgpr 16
		.amdhsa_next_free_sgpr 52
		.amdhsa_accum_offset 16
		.amdhsa_reserve_vcc 1
		.amdhsa_reserve_flat_scratch 0
		.amdhsa_float_round_mode_32 0
		.amdhsa_float_round_mode_16_64 0
		.amdhsa_float_denorm_mode_32 3
		.amdhsa_float_denorm_mode_16_64 3
		.amdhsa_dx10_clamp 1
		.amdhsa_ieee_mode 1
		.amdhsa_fp16_overflow 0
		.amdhsa_tg_split 0
		.amdhsa_exception_fp_ieee_invalid_op 0
		.amdhsa_exception_fp_denorm_src 0
		.amdhsa_exception_fp_ieee_div_zero 0
		.amdhsa_exception_fp_ieee_overflow 0
		.amdhsa_exception_fp_ieee_underflow 0
		.amdhsa_exception_fp_ieee_inexact 0
		.amdhsa_exception_int_div_zero 0
	.end_amdhsa_kernel
	.section	.text._ZN9rocsolver6v33100L11gemm_kernelIdlPKdPdPKS4_S4_EEvT0_S7_S7_T1_bT2_lS7_S7_lbT3_lS7_S7_lS8_T4_lS7_S7_l,"axG",@progbits,_ZN9rocsolver6v33100L11gemm_kernelIdlPKdPdPKS4_S4_EEvT0_S7_S7_T1_bT2_lS7_S7_lbT3_lS7_S7_lS8_T4_lS7_S7_l,comdat
.Lfunc_end60:
	.size	_ZN9rocsolver6v33100L11gemm_kernelIdlPKdPdPKS4_S4_EEvT0_S7_S7_T1_bT2_lS7_S7_lbT3_lS7_S7_lS8_T4_lS7_S7_l, .Lfunc_end60-_ZN9rocsolver6v33100L11gemm_kernelIdlPKdPdPKS4_S4_EEvT0_S7_S7_T1_bT2_lS7_S7_lbT3_lS7_S7_lS8_T4_lS7_S7_l
                                        ; -- End function
	.section	.AMDGPU.csdata,"",@progbits
; Kernel info:
; codeLenInByte = 632
; NumSgprs: 56
; NumVgprs: 16
; NumAgprs: 0
; TotalNumVgprs: 16
; ScratchSize: 0
; MemoryBound: 0
; FloatMode: 240
; IeeeMode: 1
; LDSByteSize: 0 bytes/workgroup (compile time only)
; SGPRBlocks: 6
; VGPRBlocks: 1
; NumSGPRsForWavesPerEU: 56
; NumVGPRsForWavesPerEU: 16
; AccumOffset: 16
; Occupancy: 8
; WaveLimiterHint : 0
; COMPUTE_PGM_RSRC2:SCRATCH_EN: 0
; COMPUTE_PGM_RSRC2:USER_SGPR: 6
; COMPUTE_PGM_RSRC2:TRAP_HANDLER: 0
; COMPUTE_PGM_RSRC2:TGID_X_EN: 1
; COMPUTE_PGM_RSRC2:TGID_Y_EN: 1
; COMPUTE_PGM_RSRC2:TGID_Z_EN: 1
; COMPUTE_PGM_RSRC2:TIDIG_COMP_CNT: 1
; COMPUTE_PGM_RSRC3_GFX90A:ACCUM_OFFSET: 3
; COMPUTE_PGM_RSRC3_GFX90A:TG_SPLIT: 0
	.section	.text._ZN9rocsolver6v33100L11gemm_kernelIdldPdPKS2_S2_EEvT0_S5_S5_T1_bT2_lS5_S5_lbT3_lS5_S5_lS6_T4_lS5_S5_l,"axG",@progbits,_ZN9rocsolver6v33100L11gemm_kernelIdldPdPKS2_S2_EEvT0_S5_S5_T1_bT2_lS5_S5_lbT3_lS5_S5_lS6_T4_lS5_S5_l,comdat
	.globl	_ZN9rocsolver6v33100L11gemm_kernelIdldPdPKS2_S2_EEvT0_S5_S5_T1_bT2_lS5_S5_lbT3_lS5_S5_lS6_T4_lS5_S5_l ; -- Begin function _ZN9rocsolver6v33100L11gemm_kernelIdldPdPKS2_S2_EEvT0_S5_S5_T1_bT2_lS5_S5_lbT3_lS5_S5_lS6_T4_lS5_S5_l
	.p2align	8
	.type	_ZN9rocsolver6v33100L11gemm_kernelIdldPdPKS2_S2_EEvT0_S5_S5_T1_bT2_lS5_S5_lbT3_lS5_S5_lS6_T4_lS5_S5_l,@function
_ZN9rocsolver6v33100L11gemm_kernelIdldPdPKS2_S2_EEvT0_S5_S5_T1_bT2_lS5_S5_lbT3_lS5_S5_lS6_T4_lS5_S5_l: ; @_ZN9rocsolver6v33100L11gemm_kernelIdldPdPKS2_S2_EEvT0_S5_S5_T1_bT2_lS5_S5_lbT3_lS5_S5_lS6_T4_lS5_S5_l
; %bb.0:
	s_load_dword s0, s[4:5], 0xbc
	s_load_dwordx8 s[12:19], s[4:5], 0x0
	v_and_b32_e32 v4, 0x3ff, v0
	v_mov_b32_e32 v5, 0
	v_mov_b32_e32 v1, s6
	s_waitcnt lgkmcnt(0)
	s_lshr_b32 s2, s0, 16
	s_and_b32 s0, s0, 0xffff
	v_mad_u64_u32 v[2:3], s[0:1], s0, v1, v[4:5]
	v_bfe_u32 v4, v0, 10, 10
	v_mov_b32_e32 v0, s7
	v_mad_u64_u32 v[0:1], s[0:1], s2, v0, v[4:5]
	v_cmp_gt_i64_e32 vcc, s[12:13], v[2:3]
	v_cmp_gt_i64_e64 s[0:1], s[14:15], v[0:1]
	s_mov_b32 s9, 0
	s_and_b64 s[0:1], vcc, s[0:1]
	s_and_saveexec_b64 s[2:3], s[0:1]
	s_cbranch_execz .LBB61_6
; %bb.1:
	v_cmp_lt_i64_e64 s[0:1], s[16:17], 1
	s_and_b64 vcc, exec, s[0:1]
	s_cbranch_vccnz .LBB61_4
; %bb.2:
	s_load_dwordx8 s[20:27], s[4:5], 0x58
	s_load_dwordx2 s[0:1], s[4:5], 0x48
	s_load_dwordx8 s[36:43], s[4:5], 0x28
	s_lshl_b64 s[2:3], s[8:9], 3
	s_waitcnt lgkmcnt(0)
	s_add_u32 s2, s20, s2
	s_mul_i32 s1, s8, s1
	s_mul_hi_u32 s6, s8, s0
	s_addc_u32 s3, s21, s3
	s_add_i32 s1, s6, s1
	s_mul_i32 s0, s8, s0
	s_load_dwordx2 s[2:3], s[2:3], 0x0
	s_lshl_b64 s[0:1], s[0:1], 3
	s_add_u32 s6, s36, s0
	s_addc_u32 s7, s37, s1
	s_lshl_b64 s[0:1], s[38:39], 3
	s_add_u32 s6, s6, s0
	s_addc_u32 s7, s7, s1
	s_lshl_b64 s[0:1], s[22:23], 3
	s_waitcnt lgkmcnt(0)
	s_add_u32 s2, s2, s0
	s_addc_u32 s3, s3, s1
	v_mul_lo_u32 v6, v3, s40
	v_mul_lo_u32 v7, v2, s41
	v_mad_u64_u32 v[4:5], s[0:1], v2, s40, 0
	v_add3_u32 v5, v5, v7, v6
	v_lshlrev_b64 v[4:5], 3, v[4:5]
	v_mov_b32_e32 v7, s7
	v_add_co_u32_e32 v6, vcc, s6, v4
	v_addc_co_u32_e32 v7, vcc, v7, v5, vcc
	v_mul_lo_u32 v8, v1, s26
	v_mul_lo_u32 v9, v0, s27
	v_mad_u64_u32 v[4:5], s[0:1], v0, s26, 0
	v_add3_u32 v5, v5, v9, v8
	v_lshlrev_b64 v[4:5], 3, v[4:5]
	v_mov_b32_e32 v9, s3
	v_add_co_u32_e32 v8, vcc, s2, v4
	s_lshl_b64 s[0:1], s[24:25], 3
	s_lshl_b64 s[2:3], s[42:43], 3
	v_addc_co_u32_e32 v9, vcc, v9, v5, vcc
	v_pk_mov_b32 v[4:5], 0, 0
	v_mov_b32_e32 v10, s1
	v_mov_b32_e32 v11, s3
.LBB61_3:                               ; =>This Inner Loop Header: Depth=1
	global_load_dwordx2 v[12:13], v[6:7], off
	global_load_dwordx2 v[14:15], v[8:9], off
	v_add_co_u32_e32 v8, vcc, s0, v8
	v_addc_co_u32_e32 v9, vcc, v9, v10, vcc
	s_add_u32 s16, s16, -1
	v_add_co_u32_e32 v6, vcc, s2, v6
	s_addc_u32 s17, s17, -1
	v_addc_co_u32_e32 v7, vcc, v7, v11, vcc
	s_cmp_eq_u64 s[16:17], 0
	s_waitcnt vmcnt(0)
	v_fmac_f64_e32 v[4:5], v[12:13], v[14:15]
	s_cbranch_scc0 .LBB61_3
	s_branch .LBB61_5
.LBB61_4:
	v_pk_mov_b32 v[4:5], 0, 0
.LBB61_5:
	s_load_dwordx4 s[0:3], s[4:5], 0xa0
	s_load_dwordx8 s[20:27], s[4:5], 0x80
	s_waitcnt lgkmcnt(0)
	s_mul_i32 s3, s8, s3
	s_mul_hi_u32 s4, s8, s2
	s_mul_i32 s2, s8, s2
	s_add_i32 s3, s4, s3
	s_lshl_b64 s[2:3], s[2:3], 3
	s_add_u32 s4, s22, s2
	s_addc_u32 s5, s23, s3
	s_lshl_b64 s[2:3], s[24:25], 3
	s_add_u32 s4, s4, s2
	s_addc_u32 s5, s5, s3
	v_mul_lo_u32 v6, v3, s26
	v_mul_lo_u32 v7, v2, s27
	v_mad_u64_u32 v[2:3], s[2:3], v2, s26, 0
	v_add3_u32 v3, v3, v7, v6
	v_mul_lo_u32 v6, v1, s0
	v_mul_lo_u32 v7, v0, s1
	v_mad_u64_u32 v[0:1], s[0:1], v0, s0, 0
	v_lshlrev_b64 v[2:3], 3, v[2:3]
	v_add3_u32 v1, v1, v7, v6
	v_mov_b32_e32 v6, s5
	v_add_co_u32_e32 v2, vcc, s4, v2
	v_addc_co_u32_e32 v3, vcc, v6, v3, vcc
	v_lshlrev_b64 v[0:1], 3, v[0:1]
	v_add_co_u32_e32 v0, vcc, v2, v0
	v_addc_co_u32_e32 v1, vcc, v3, v1, vcc
	global_load_dwordx2 v[2:3], v[0:1], off
	s_waitcnt vmcnt(0)
	v_mul_f64 v[2:3], v[2:3], s[20:21]
	v_fmac_f64_e32 v[2:3], s[18:19], v[4:5]
	global_store_dwordx2 v[0:1], v[2:3], off
.LBB61_6:
	s_endpgm
	.section	.rodata,"a",@progbits
	.p2align	6, 0x0
	.amdhsa_kernel _ZN9rocsolver6v33100L11gemm_kernelIdldPdPKS2_S2_EEvT0_S5_S5_T1_bT2_lS5_S5_lbT3_lS5_S5_lS6_T4_lS5_S5_l
		.amdhsa_group_segment_fixed_size 0
		.amdhsa_private_segment_fixed_size 0
		.amdhsa_kernarg_size 432
		.amdhsa_user_sgpr_count 6
		.amdhsa_user_sgpr_private_segment_buffer 1
		.amdhsa_user_sgpr_dispatch_ptr 0
		.amdhsa_user_sgpr_queue_ptr 0
		.amdhsa_user_sgpr_kernarg_segment_ptr 1
		.amdhsa_user_sgpr_dispatch_id 0
		.amdhsa_user_sgpr_flat_scratch_init 0
		.amdhsa_user_sgpr_kernarg_preload_length 0
		.amdhsa_user_sgpr_kernarg_preload_offset 0
		.amdhsa_user_sgpr_private_segment_size 0
		.amdhsa_uses_dynamic_stack 0
		.amdhsa_system_sgpr_private_segment_wavefront_offset 0
		.amdhsa_system_sgpr_workgroup_id_x 1
		.amdhsa_system_sgpr_workgroup_id_y 1
		.amdhsa_system_sgpr_workgroup_id_z 1
		.amdhsa_system_sgpr_workgroup_info 0
		.amdhsa_system_vgpr_workitem_id 1
		.amdhsa_next_free_vgpr 16
		.amdhsa_next_free_sgpr 44
		.amdhsa_accum_offset 16
		.amdhsa_reserve_vcc 1
		.amdhsa_reserve_flat_scratch 0
		.amdhsa_float_round_mode_32 0
		.amdhsa_float_round_mode_16_64 0
		.amdhsa_float_denorm_mode_32 3
		.amdhsa_float_denorm_mode_16_64 3
		.amdhsa_dx10_clamp 1
		.amdhsa_ieee_mode 1
		.amdhsa_fp16_overflow 0
		.amdhsa_tg_split 0
		.amdhsa_exception_fp_ieee_invalid_op 0
		.amdhsa_exception_fp_denorm_src 0
		.amdhsa_exception_fp_ieee_div_zero 0
		.amdhsa_exception_fp_ieee_overflow 0
		.amdhsa_exception_fp_ieee_underflow 0
		.amdhsa_exception_fp_ieee_inexact 0
		.amdhsa_exception_int_div_zero 0
	.end_amdhsa_kernel
	.section	.text._ZN9rocsolver6v33100L11gemm_kernelIdldPdPKS2_S2_EEvT0_S5_S5_T1_bT2_lS5_S5_lbT3_lS5_S5_lS6_T4_lS5_S5_l,"axG",@progbits,_ZN9rocsolver6v33100L11gemm_kernelIdldPdPKS2_S2_EEvT0_S5_S5_T1_bT2_lS5_S5_lbT3_lS5_S5_lS6_T4_lS5_S5_l,comdat
.Lfunc_end61:
	.size	_ZN9rocsolver6v33100L11gemm_kernelIdldPdPKS2_S2_EEvT0_S5_S5_T1_bT2_lS5_S5_lbT3_lS5_S5_lS6_T4_lS5_S5_l, .Lfunc_end61-_ZN9rocsolver6v33100L11gemm_kernelIdldPdPKS2_S2_EEvT0_S5_S5_T1_bT2_lS5_S5_lbT3_lS5_S5_lS6_T4_lS5_S5_l
                                        ; -- End function
	.section	.AMDGPU.csdata,"",@progbits
; Kernel info:
; codeLenInByte = 616
; NumSgprs: 48
; NumVgprs: 16
; NumAgprs: 0
; TotalNumVgprs: 16
; ScratchSize: 0
; MemoryBound: 0
; FloatMode: 240
; IeeeMode: 1
; LDSByteSize: 0 bytes/workgroup (compile time only)
; SGPRBlocks: 5
; VGPRBlocks: 1
; NumSGPRsForWavesPerEU: 48
; NumVGPRsForWavesPerEU: 16
; AccumOffset: 16
; Occupancy: 8
; WaveLimiterHint : 0
; COMPUTE_PGM_RSRC2:SCRATCH_EN: 0
; COMPUTE_PGM_RSRC2:USER_SGPR: 6
; COMPUTE_PGM_RSRC2:TRAP_HANDLER: 0
; COMPUTE_PGM_RSRC2:TGID_X_EN: 1
; COMPUTE_PGM_RSRC2:TGID_Y_EN: 1
; COMPUTE_PGM_RSRC2:TGID_Z_EN: 1
; COMPUTE_PGM_RSRC2:TIDIG_COMP_CNT: 1
; COMPUTE_PGM_RSRC3_GFX90A:ACCUM_OFFSET: 3
; COMPUTE_PGM_RSRC3_GFX90A:TG_SPLIT: 0
	.section	.text._ZN9rocsolver6v33100L16mfma_gemm_kernelIdlPKdPdS4_PKS4_EEv18rocblas_operation_S7_T0_S8_S8_T1_T2_lS8_S8_lT3_lS8_S8_lS9_T4_lS8_S8_l,"axG",@progbits,_ZN9rocsolver6v33100L16mfma_gemm_kernelIdlPKdPdS4_PKS4_EEv18rocblas_operation_S7_T0_S8_S8_T1_T2_lS8_S8_lT3_lS8_S8_lS9_T4_lS8_S8_l,comdat
	.globl	_ZN9rocsolver6v33100L16mfma_gemm_kernelIdlPKdPdS4_PKS4_EEv18rocblas_operation_S7_T0_S8_S8_T1_T2_lS8_S8_lT3_lS8_S8_lS9_T4_lS8_S8_l ; -- Begin function _ZN9rocsolver6v33100L16mfma_gemm_kernelIdlPKdPdS4_PKS4_EEv18rocblas_operation_S7_T0_S8_S8_T1_T2_lS8_S8_lT3_lS8_S8_lS9_T4_lS8_S8_l
	.p2align	8
	.type	_ZN9rocsolver6v33100L16mfma_gemm_kernelIdlPKdPdS4_PKS4_EEv18rocblas_operation_S7_T0_S8_S8_T1_T2_lS8_S8_lT3_lS8_S8_lS9_T4_lS8_S8_l,@function
_ZN9rocsolver6v33100L16mfma_gemm_kernelIdlPKdPdS4_PKS4_EEv18rocblas_operation_S7_T0_S8_S8_T1_T2_lS8_S8_lT3_lS8_S8_lS9_T4_lS8_S8_l: ; @_ZN9rocsolver6v33100L16mfma_gemm_kernelIdlPKdPdS4_PKS4_EEv18rocblas_operation_S7_T0_S8_S8_T1_T2_lS8_S8_lT3_lS8_S8_lS9_T4_lS8_S8_l
; %bb.0:
	s_load_dword s0, s[4:5], 0xb4
	s_load_dwordx16 s[12:27], s[4:5], 0x8
	v_and_b32_e32 v1, 0x3ff, v0
	v_lshrrev_b32_e32 v8, 6, v1
	v_mov_b32_e32 v9, 0
	s_waitcnt lgkmcnt(0)
	s_lshr_b32 s2, s0, 16
	s_bfe_u32 s0, s0, 0xa0006
	v_bfe_u32 v2, v0, 10, 10
	v_mov_b32_e32 v0, s6
	v_mov_b32_e32 v3, v9
	v_mad_u64_u32 v[22:23], s[0:1], s0, v0, v[8:9]
	v_mov_b32_e32 v0, s7
	v_mad_u64_u32 v[26:27], s[0:1], s2, v0, v[2:3]
	v_lshlrev_b64 v[12:13], 4, v[22:23]
	v_lshlrev_b64 v[14:15], 4, v[26:27]
	v_cmp_gt_i64_e32 vcc, s[12:13], v[12:13]
	v_cmp_gt_i64_e64 s[0:1], s[14:15], v[14:15]
	s_and_b64 s[0:1], vcc, s[0:1]
	s_and_saveexec_b64 s[2:3], s[0:1]
	s_cbranch_execz .LBB62_36
; %bb.1:
	s_load_dwordx16 s[36:51], s[4:5], 0x48
	v_add_co_u32_e32 v2, vcc, 16, v12
	v_addc_co_u32_e32 v3, vcc, 0, v13, vcc
	s_and_b32 s0, s12, 15
	v_mov_b32_e32 v0, s0
	v_cmp_lt_u64_e32 vcc, s[12:13], v[2:3]
	s_mov_b32 s9, 0
	s_and_b32 s0, s14, 15
	v_cndmask_b32_e32 v8, 16, v0, vcc
	v_mov_b32_e32 v0, s0
	s_lshl_b64 s[0:1], s[8:9], 3
	v_add_co_u32_e32 v2, vcc, 16, v14
	s_waitcnt lgkmcnt(0)
	s_add_u32 s0, s50, s0
	v_addc_co_u32_e32 v3, vcc, 0, v15, vcc
	s_addc_u32 s1, s51, s1
	v_cmp_lt_u64_e32 vcc, s[14:15], v[2:3]
	s_load_dwordx2 s[12:13], s[18:19], 0x0
	s_load_dwordx2 s[14:15], s[48:49], 0x0
	v_cndmask_b32_e32 v16, 16, v0, vcc
	s_load_dwordx2 s[18:19], s[0:1], 0x0
	v_mov_b32_e32 v17, v9
	v_bfe_u32 v18, v1, 2, 4
	v_mov_b32_e32 v19, v9
	v_cmp_lt_i64_e64 s[0:1], s[16:17], 1
	v_pk_mov_b32 v[6:7], 0, 0
	v_and_b32_e32 v25, 63, v1
	v_and_b32_e32 v10, 3, v1
	v_mov_b32_e32 v11, v9
	s_and_b64 vcc, exec, s[0:1]
	v_cmp_lt_u64_e64 s[0:1], v[18:19], v[16:17]
	v_mbcnt_lo_u32_b32 v34, -1, 0
	v_pk_mov_b32 v[4:5], v[6:7], v[6:7] op_sel:[0,1]
	v_pk_mov_b32 v[2:3], v[6:7], v[6:7] op_sel:[0,1]
	;; [unrolled: 1-line block ×3, first 2 shown]
	s_cbranch_vccnz .LBB62_28
; %bb.2:
	s_load_dwordx2 s[2:3], s[4:5], 0x0
	v_mov_b32_e32 v1, 0
	v_and_b32_e32 v0, 15, v25
	v_lshrrev_b32_e32 v20, 4, v25
	v_cmp_lt_u64_e64 s[6:7], v[0:1], v[8:9]
	s_waitcnt lgkmcnt(0)
	s_cmpk_lg_i32 s2, 0x6f
	s_cselect_b64 s[28:29], -1, 0
	s_cmpk_lg_i32 s3, 0x6f
	s_cselect_b64 s[30:31], -1, 0
	s_cmpk_eq_i32 s3, 0x6f
	s_cselect_b32 s9, s44, s42
	s_cselect_b32 s33, s45, s43
	s_cmpk_eq_i32 s2, 0x6f
	s_cselect_b32 s34, s24, s26
	s_cselect_b32 s35, s25, s27
	v_cmp_lt_u64_e64 s[10:11], v[0:1], v[16:17]
	v_mul_lo_u32 v1, s35, v22
	v_mul_lo_u32 v4, s34, v23
	v_mad_u64_u32 v[2:3], s[34:35], s34, v22, 0
	v_add3_u32 v3, v3, v4, v1
	v_mad_u64_u32 v[4:5], s[34:35], s26, v20, 0
	v_mov_b32_e32 v6, v5
	v_mad_u64_u32 v[6:7], s[34:35], s27, v20, v[6:7]
	v_mov_b32_e32 v5, v6
	v_lshlrev_b64 v[2:3], 7, v[2:3]
	v_lshlrev_b64 v[4:5], 3, v[4:5]
	s_mul_i32 s34, s37, s8
	s_mul_hi_u32 s35, s36, s8
	v_add_co_u32_e32 v1, vcc, v2, v4
	s_add_i32 s35, s35, s34
	s_mul_i32 s34, s36, s8
	v_addc_co_u32_e32 v4, vcc, v3, v5, vcc
	s_lshl_b64 s[36:37], s[34:35], 3
	v_mov_b32_e32 v23, s37
	v_add_co_u32_e32 v1, vcc, s36, v1
	v_addc_co_u32_e32 v21, vcc, v4, v23, vcc
	v_mad_u64_u32 v[4:5], s[34:35], s24, v0, 0
	v_mov_b32_e32 v6, v5
	v_mad_u64_u32 v[6:7], s[34:35], s25, v0, v[6:7]
	v_mov_b32_e32 v5, v6
	v_lshlrev_b64 v[4:5], 3, v[4:5]
	v_add_co_u32_e32 v1, vcc, v1, v4
	v_addc_co_u32_e32 v4, vcc, v21, v5, vcc
	v_mov_b32_e32 v5, s21
	v_add_co_u32_e32 v22, vcc, s20, v1
	v_addc_co_u32_e32 v21, vcc, v5, v4, vcc
	v_mad_u64_u32 v[4:5], s[48:49], s26, v18, 0
	v_mov_b32_e32 v6, v5
	s_lshl_b64 s[34:35], s[26:27], 5
	v_mad_u64_u32 v[6:7], s[26:27], s27, v18, v[6:7]
	v_mov_b32_e32 v5, v6
	v_lshlrev_b64 v[4:5], 3, v[4:5]
	v_add_co_u32_e32 v1, vcc, v2, v4
	v_addc_co_u32_e32 v2, vcc, v3, v5, vcc
	v_add_co_u32_e32 v1, vcc, s36, v1
	v_addc_co_u32_e32 v6, vcc, v2, v23, vcc
	v_mad_u64_u32 v[2:3], s[26:27], s24, v10, 0
	v_mov_b32_e32 v4, v3
	v_mad_u64_u32 v[4:5], s[26:27], s25, v10, v[4:5]
	v_mov_b32_e32 v3, v4
	v_lshlrev_b64 v[2:3], 3, v[2:3]
	v_add_co_u32_e32 v1, vcc, v1, v2
	v_addc_co_u32_e32 v2, vcc, v6, v3, vcc
	v_mov_b32_e32 v3, s21
	v_add_co_u32_e32 v24, vcc, s20, v1
	v_addc_co_u32_e32 v23, vcc, v3, v2, vcc
	s_lshl_b64 s[20:21], s[24:25], 5
	v_mul_lo_u32 v1, s33, v26
	v_mul_lo_u32 v4, s9, v27
	v_mad_u64_u32 v[2:3], s[24:25], s9, v26, 0
	v_add3_u32 v3, v3, v4, v1
	v_mad_u64_u32 v[4:5], s[24:25], s44, v18, 0
	v_mov_b32_e32 v6, v5
	v_mad_u64_u32 v[6:7], s[24:25], s45, v18, v[6:7]
	v_mov_b32_e32 v5, v6
	v_lshlrev_b64 v[2:3], 7, v[2:3]
	v_lshlrev_b64 v[4:5], 3, v[4:5]
	s_mul_i32 s9, s47, s8
	s_mul_hi_u32 s24, s46, s8
	v_add_co_u32_e32 v1, vcc, v2, v4
	s_add_i32 s9, s24, s9
	s_mul_i32 s8, s46, s8
	v_addc_co_u32_e32 v4, vcc, v3, v5, vcc
	s_lshl_b64 s[24:25], s[8:9], 3
	v_mov_b32_e32 v28, s25
	v_add_co_u32_e32 v1, vcc, s24, v1
	v_addc_co_u32_e32 v26, vcc, v4, v28, vcc
	v_mad_u64_u32 v[4:5], s[8:9], s42, v10, 0
	v_mov_b32_e32 v6, v5
	v_mad_u64_u32 v[6:7], s[8:9], s43, v10, v[6:7]
	v_mov_b32_e32 v5, v6
	s_lshl_b64 s[22:23], s[22:23], 3
	v_lshlrev_b64 v[4:5], 3, v[4:5]
	s_lshl_b64 s[8:9], s[40:41], 3
	v_add_co_u32_e32 v1, vcc, v1, v4
	s_add_u32 s33, s38, s8
	v_addc_co_u32_e32 v4, vcc, v26, v5, vcc
	s_addc_u32 s36, s39, s9
	v_mov_b32_e32 v5, s36
	v_add_co_u32_e32 v26, vcc, s33, v1
	v_addc_co_u32_e32 v27, vcc, v5, v4, vcc
	v_mad_u64_u32 v[4:5], s[26:27], s44, v20, 0
	v_mov_b32_e32 v6, v5
	v_mad_u64_u32 v[6:7], s[26:27], s45, v20, v[6:7]
	v_mov_b32_e32 v5, v6
	v_lshlrev_b64 v[4:5], 3, v[4:5]
	v_add_co_u32_e32 v1, vcc, v2, v4
	v_addc_co_u32_e32 v2, vcc, v3, v5, vcc
	v_add_co_u32_e32 v5, vcc, s24, v1
	v_addc_co_u32_e32 v6, vcc, v2, v28, vcc
	v_mad_u64_u32 v[2:3], s[24:25], s42, v0, 0
	v_mov_b32_e32 v4, v3
	v_lshl_or_b32 v30, v0, 2, v20
	v_mad_u64_u32 v[0:1], s[24:25], s43, v0, v[4:5]
	v_mov_b32_e32 v3, v0
	v_lshlrev_b64 v[0:1], 3, v[2:3]
	v_add_co_u32_e32 v0, vcc, v5, v0
	v_addc_co_u32_e32 v1, vcc, v6, v1, vcc
	v_mov_b32_e32 v2, s36
	v_add_co_u32_e32 v28, vcc, s33, v0
	v_addc_co_u32_e32 v29, vcc, v2, v1, vcc
	v_mbcnt_hi_u32_b32 v2, -1, v34
	v_pk_mov_b32 v[0:1], 0, 0
	v_and_or_b32 v2, v2, 64, v30
	v_cmp_lt_u64_e64 s[2:3], v[18:19], v[8:9]
	s_lshl_b64 s[8:9], s[42:43], 5
	s_lshl_b64 s[24:25], s[44:45], 5
	s_mov_b64 s[26:27], 0
	v_lshlrev_b32_e32 v35, 2, v2
	v_pk_mov_b32 v[2:3], v[0:1], v[0:1] op_sel:[0,1]
	v_pk_mov_b32 v[4:5], v[0:1], v[0:1] op_sel:[0,1]
	;; [unrolled: 1-line block ×3, first 2 shown]
	s_branch .LBB62_6
.LBB62_3:                               ;   in Loop: Header=BB62_6 Depth=1
	s_or_b64 exec, exec, s[38:39]
.LBB62_4:                               ;   in Loop: Header=BB62_6 Depth=1
	s_or_b64 exec, exec, s[36:37]
	s_waitcnt vmcnt(0)
	ds_bpermute_b32 v32, v35, v32
	ds_bpermute_b32 v33, v35, v33
.LBB62_5:                               ;   in Loop: Header=BB62_6 Depth=1
	v_mov_b32_e32 v36, s35
	v_add_co_u32_e32 v22, vcc, s34, v22
	v_addc_co_u32_e32 v21, vcc, v21, v36, vcc
	v_mov_b32_e32 v36, s21
	v_add_co_u32_e32 v24, vcc, s20, v24
	s_waitcnt vmcnt(0) lgkmcnt(0)
	v_mfma_f64_16x16x4f64 v[0:7], v[30:31], v[32:33], v[0:7]
	s_add_u32 s26, s26, 4
	s_addc_u32 s27, s27, 0
	v_addc_co_u32_e32 v23, vcc, v23, v36, vcc
	v_mov_b32_e32 v36, s9
	v_add_co_u32_e32 v26, vcc, s8, v26
	v_addc_co_u32_e32 v27, vcc, v27, v36, vcc
	v_mov_b32_e32 v30, s25
	v_add_co_u32_e32 v28, vcc, s24, v28
	v_addc_co_u32_e32 v29, vcc, v29, v30, vcc
	v_pk_mov_b32 v[30:31], s[16:17], s[16:17] op_sel:[0,1]
	v_cmp_ge_i64_e32 vcc, s[26:27], v[30:31]
	s_cbranch_vccnz .LBB62_28
.LBB62_6:                               ; =>This Inner Loop Header: Depth=1
	s_and_b64 vcc, exec, s[28:29]
	s_cbranch_vccz .LBB62_18
; %bb.7:                                ;   in Loop: Header=BB62_6 Depth=1
	v_pk_mov_b32 v[30:31], 0, 0
	s_and_saveexec_b64 s[36:37], s[2:3]
	s_cbranch_execz .LBB62_11
; %bb.8:                                ;   in Loop: Header=BB62_6 Depth=1
	v_mov_b32_e32 v31, s27
	v_add_co_u32_e32 v30, vcc, s26, v10
	v_addc_co_u32_e32 v31, vcc, 0, v31, vcc
	v_cmp_gt_i64_e32 vcc, s[16:17], v[30:31]
	v_pk_mov_b32 v[30:31], 0, 0
	s_and_saveexec_b64 s[38:39], vcc
	s_cbranch_execz .LBB62_10
; %bb.9:                                ;   in Loop: Header=BB62_6 Depth=1
	v_mov_b32_e32 v31, s23
	v_add_co_u32_e32 v30, vcc, s22, v24
	v_addc_co_u32_e32 v31, vcc, v23, v31, vcc
	global_load_dwordx2 v[30:31], v[30:31], off
.LBB62_10:                              ;   in Loop: Header=BB62_6 Depth=1
	s_or_b64 exec, exec, s[38:39]
.LBB62_11:                              ;   in Loop: Header=BB62_6 Depth=1
	s_or_b64 exec, exec, s[36:37]
	s_waitcnt vmcnt(0)
	ds_bpermute_b32 v30, v35, v30
	ds_bpermute_b32 v31, v35, v31
.LBB62_12:                              ;   in Loop: Header=BB62_6 Depth=1
	s_and_b64 vcc, exec, s[30:31]
	s_cbranch_vccz .LBB62_24
.LBB62_13:                              ;   in Loop: Header=BB62_6 Depth=1
	v_pk_mov_b32 v[32:33], 0, 0
	s_and_saveexec_b64 s[36:37], s[10:11]
	s_cbranch_execz .LBB62_17
; %bb.14:                               ;   in Loop: Header=BB62_6 Depth=1
	v_mov_b32_e32 v33, s27
	v_add_co_u32_e32 v32, vcc, s26, v20
	v_addc_co_u32_e32 v33, vcc, 0, v33, vcc
	v_cmp_gt_i64_e32 vcc, s[16:17], v[32:33]
	v_pk_mov_b32 v[32:33], 0, 0
	s_and_saveexec_b64 s[38:39], vcc
	s_cbranch_execz .LBB62_16
; %bb.15:                               ;   in Loop: Header=BB62_6 Depth=1
	global_load_dwordx2 v[32:33], v[28:29], off
.LBB62_16:                              ;   in Loop: Header=BB62_6 Depth=1
	s_or_b64 exec, exec, s[38:39]
.LBB62_17:                              ;   in Loop: Header=BB62_6 Depth=1
	s_or_b64 exec, exec, s[36:37]
	s_cbranch_execnz .LBB62_5
	s_branch .LBB62_25
.LBB62_18:                              ;   in Loop: Header=BB62_6 Depth=1
                                        ; implicit-def: $vgpr30_vgpr31
	s_cbranch_execz .LBB62_12
; %bb.19:                               ;   in Loop: Header=BB62_6 Depth=1
	s_waitcnt lgkmcnt(0)
	v_pk_mov_b32 v[30:31], 0, 0
	s_and_saveexec_b64 s[36:37], s[6:7]
	s_cbranch_execz .LBB62_23
; %bb.20:                               ;   in Loop: Header=BB62_6 Depth=1
	v_mov_b32_e32 v31, s27
	v_add_co_u32_e32 v30, vcc, s26, v20
	v_addc_co_u32_e32 v31, vcc, 0, v31, vcc
	v_cmp_gt_i64_e32 vcc, s[16:17], v[30:31]
	v_pk_mov_b32 v[30:31], 0, 0
	s_and_saveexec_b64 s[38:39], vcc
	s_cbranch_execz .LBB62_22
; %bb.21:                               ;   in Loop: Header=BB62_6 Depth=1
	v_mov_b32_e32 v31, s23
	v_add_co_u32_e32 v30, vcc, s22, v22
	v_addc_co_u32_e32 v31, vcc, v21, v31, vcc
	global_load_dwordx2 v[30:31], v[30:31], off
.LBB62_22:                              ;   in Loop: Header=BB62_6 Depth=1
	s_or_b64 exec, exec, s[38:39]
.LBB62_23:                              ;   in Loop: Header=BB62_6 Depth=1
	s_or_b64 exec, exec, s[36:37]
	s_and_b64 vcc, exec, s[30:31]
	s_cbranch_vccnz .LBB62_13
.LBB62_24:                              ;   in Loop: Header=BB62_6 Depth=1
                                        ; implicit-def: $vgpr32_vgpr33
.LBB62_25:                              ;   in Loop: Header=BB62_6 Depth=1
	s_waitcnt vmcnt(0)
	v_pk_mov_b32 v[32:33], 0, 0
	s_and_saveexec_b64 s[36:37], s[0:1]
	s_cbranch_execz .LBB62_4
; %bb.26:                               ;   in Loop: Header=BB62_6 Depth=1
	v_mov_b32_e32 v33, s27
	v_add_co_u32_e32 v32, vcc, s26, v10
	v_addc_co_u32_e32 v33, vcc, 0, v33, vcc
	v_cmp_gt_i64_e32 vcc, s[16:17], v[32:33]
	v_pk_mov_b32 v[32:33], 0, 0
	s_and_saveexec_b64 s[38:39], vcc
	s_cbranch_execz .LBB62_3
; %bb.27:                               ;   in Loop: Header=BB62_6 Depth=1
	global_load_dwordx2 v[32:33], v[26:27], off
	s_branch .LBB62_3
.LBB62_28:
	s_load_dwordx4 s[0:3], s[4:5], 0x88
	s_load_dwordx2 s[6:7], s[4:5], 0x98
	s_waitcnt lgkmcnt(0)
	s_lshl_b64 s[0:1], s[0:1], 3
	s_add_u32 s4, s18, s0
	v_mul_lo_u32 v20, v15, s6
	v_mul_lo_u32 v21, v14, s7
	s_addc_u32 s5, s19, s1
	v_mad_u64_u32 v[14:15], s[0:1], v14, s6, 0
	v_add3_u32 v15, v15, v21, v20
	v_mul_lo_u32 v20, v13, s2
	v_mul_lo_u32 v21, v12, s3
	v_mad_u64_u32 v[12:13], s[0:1], v12, s2, 0
	v_lshlrev_b64 v[14:15], 3, v[14:15]
	v_add3_u32 v13, v13, v21, v20
	v_mov_b32_e32 v20, s5
	v_add_co_u32_e32 v14, vcc, s4, v14
	v_addc_co_u32_e32 v15, vcc, v20, v15, vcc
	v_lshlrev_b64 v[12:13], 3, v[12:13]
	v_add_co_u32_e32 v20, vcc, v14, v12
	v_lshl_or_b32 v12, v25, 4, v18
	v_addc_co_u32_e32 v15, vcc, v15, v13, vcc
	v_mbcnt_hi_u32_b32 v13, -1, v34
	v_and_b32_e32 v12, 63, v12
	v_and_or_b32 v12, v13, 64, v12
	v_lshlrev_b32_e32 v14, 2, v12
	v_mad_u64_u32 v[12:13], s[0:1], v18, s6, 0
	v_cmp_lt_u64_e32 vcc, v[18:19], v[16:17]
	v_mov_b32_e32 v16, v13
	v_mad_u64_u32 v[16:17], s[0:1], v18, s7, v[16:17]
	v_mov_b32_e32 v13, v16
	v_lshlrev_b64 v[12:13], 3, v[12:13]
	ds_bpermute_b32 v0, v14, v0
	ds_bpermute_b32 v1, v14, v1
	v_add_co_u32_e64 v12, s[0:1], v20, v12
	v_addc_co_u32_e64 v13, s[0:1], v15, v13, s[0:1]
	v_cmp_lt_u64_e64 s[0:1], v[10:11], v[8:9]
	s_and_b64 s[0:1], vcc, s[0:1]
	s_and_saveexec_b64 s[4:5], s[0:1]
	s_cbranch_execz .LBB62_30
; %bb.29:
	v_mad_u64_u32 v[16:17], s[0:1], v10, s2, 0
	v_mov_b32_e32 v18, v17
	v_mad_u64_u32 v[18:19], s[0:1], v10, s3, v[18:19]
	v_mov_b32_e32 v17, v18
	v_lshlrev_b64 v[16:17], 3, v[16:17]
	v_add_co_u32_e64 v16, s[0:1], v12, v16
	v_addc_co_u32_e64 v17, s[0:1], v13, v17, s[0:1]
	global_load_dwordx2 v[18:19], v[16:17], off
	s_waitcnt vmcnt(0)
	v_mul_f64 v[18:19], s[14:15], v[18:19]
	s_waitcnt lgkmcnt(0)
	v_fmac_f64_e32 v[18:19], s[12:13], v[0:1]
	global_store_dwordx2 v[16:17], v[18:19], off
.LBB62_30:
	s_or_b64 exec, exec, s[4:5]
	s_waitcnt lgkmcnt(1)
	ds_bpermute_b32 v0, v14, v2
	s_waitcnt lgkmcnt(1)
	ds_bpermute_b32 v1, v14, v3
	v_or_b32_e32 v2, 4, v10
	v_mov_b32_e32 v3, v11
	v_cmp_lt_u64_e64 s[0:1], v[2:3], v[8:9]
	s_and_b64 s[0:1], vcc, s[0:1]
	s_and_saveexec_b64 s[4:5], s[0:1]
	s_cbranch_execz .LBB62_32
; %bb.31:
	v_mad_u64_u32 v[16:17], s[0:1], v2, s2, 0
	v_mov_b32_e32 v18, v17
	v_mad_u64_u32 v[2:3], s[0:1], v2, s3, v[18:19]
	v_mov_b32_e32 v17, v2
	v_lshlrev_b64 v[2:3], 3, v[16:17]
	v_add_co_u32_e64 v2, s[0:1], v12, v2
	v_addc_co_u32_e64 v3, s[0:1], v13, v3, s[0:1]
	global_load_dwordx2 v[16:17], v[2:3], off
	s_waitcnt vmcnt(0)
	v_mul_f64 v[16:17], s[14:15], v[16:17]
	s_waitcnt lgkmcnt(0)
	v_fmac_f64_e32 v[16:17], s[12:13], v[0:1]
	global_store_dwordx2 v[2:3], v[16:17], off
.LBB62_32:
	s_or_b64 exec, exec, s[4:5]
	s_waitcnt lgkmcnt(1)
	ds_bpermute_b32 v0, v14, v4
	s_waitcnt lgkmcnt(1)
	ds_bpermute_b32 v1, v14, v5
	v_or_b32_e32 v2, 8, v10
	v_mov_b32_e32 v3, v11
	v_cmp_lt_u64_e64 s[0:1], v[2:3], v[8:9]
	s_and_b64 s[0:1], vcc, s[0:1]
	s_and_saveexec_b64 s[4:5], s[0:1]
	s_cbranch_execz .LBB62_34
; %bb.33:
	v_mad_u64_u32 v[4:5], s[0:1], v2, s2, 0
	v_mov_b32_e32 v16, v5
	v_mad_u64_u32 v[2:3], s[0:1], v2, s3, v[16:17]
	v_mov_b32_e32 v5, v2
	v_lshlrev_b64 v[2:3], 3, v[4:5]
	v_add_co_u32_e64 v2, s[0:1], v12, v2
	v_addc_co_u32_e64 v3, s[0:1], v13, v3, s[0:1]
	global_load_dwordx2 v[4:5], v[2:3], off
	s_waitcnt vmcnt(0)
	v_mul_f64 v[4:5], s[14:15], v[4:5]
	s_waitcnt lgkmcnt(0)
	v_fmac_f64_e32 v[4:5], s[12:13], v[0:1]
	global_store_dwordx2 v[2:3], v[4:5], off
.LBB62_34:
	s_or_b64 exec, exec, s[4:5]
	s_waitcnt lgkmcnt(1)
	ds_bpermute_b32 v0, v14, v6
	s_waitcnt lgkmcnt(1)
	ds_bpermute_b32 v1, v14, v7
	v_or_b32_e32 v10, 12, v10
	v_cmp_lt_u64_e64 s[0:1], v[10:11], v[8:9]
	s_and_b64 s[0:1], vcc, s[0:1]
	s_and_b64 exec, exec, s[0:1]
	s_cbranch_execz .LBB62_36
; %bb.35:
	v_mad_u64_u32 v[2:3], s[0:1], v10, s2, 0
	v_mov_b32_e32 v4, v3
	v_mad_u64_u32 v[4:5], s[0:1], v10, s3, v[4:5]
	v_mov_b32_e32 v3, v4
	v_lshlrev_b64 v[2:3], 3, v[2:3]
	v_add_co_u32_e32 v2, vcc, v12, v2
	v_addc_co_u32_e32 v3, vcc, v13, v3, vcc
	global_load_dwordx2 v[4:5], v[2:3], off
	s_waitcnt vmcnt(0)
	v_mul_f64 v[4:5], s[14:15], v[4:5]
	s_waitcnt lgkmcnt(0)
	v_fmac_f64_e32 v[4:5], s[12:13], v[0:1]
	global_store_dwordx2 v[2:3], v[4:5], off
.LBB62_36:
	s_endpgm
	.section	.rodata,"a",@progbits
	.p2align	6, 0x0
	.amdhsa_kernel _ZN9rocsolver6v33100L16mfma_gemm_kernelIdlPKdPdS4_PKS4_EEv18rocblas_operation_S7_T0_S8_S8_T1_T2_lS8_S8_lT3_lS8_S8_lS9_T4_lS8_S8_l
		.amdhsa_group_segment_fixed_size 0
		.amdhsa_private_segment_fixed_size 0
		.amdhsa_kernarg_size 424
		.amdhsa_user_sgpr_count 6
		.amdhsa_user_sgpr_private_segment_buffer 1
		.amdhsa_user_sgpr_dispatch_ptr 0
		.amdhsa_user_sgpr_queue_ptr 0
		.amdhsa_user_sgpr_kernarg_segment_ptr 1
		.amdhsa_user_sgpr_dispatch_id 0
		.amdhsa_user_sgpr_flat_scratch_init 0
		.amdhsa_user_sgpr_kernarg_preload_length 0
		.amdhsa_user_sgpr_kernarg_preload_offset 0
		.amdhsa_user_sgpr_private_segment_size 0
		.amdhsa_uses_dynamic_stack 0
		.amdhsa_system_sgpr_private_segment_wavefront_offset 0
		.amdhsa_system_sgpr_workgroup_id_x 1
		.amdhsa_system_sgpr_workgroup_id_y 1
		.amdhsa_system_sgpr_workgroup_id_z 1
		.amdhsa_system_sgpr_workgroup_info 0
		.amdhsa_system_vgpr_workitem_id 1
		.amdhsa_next_free_vgpr 37
		.amdhsa_next_free_sgpr 52
		.amdhsa_accum_offset 40
		.amdhsa_reserve_vcc 1
		.amdhsa_reserve_flat_scratch 0
		.amdhsa_float_round_mode_32 0
		.amdhsa_float_round_mode_16_64 0
		.amdhsa_float_denorm_mode_32 3
		.amdhsa_float_denorm_mode_16_64 3
		.amdhsa_dx10_clamp 1
		.amdhsa_ieee_mode 1
		.amdhsa_fp16_overflow 0
		.amdhsa_tg_split 0
		.amdhsa_exception_fp_ieee_invalid_op 0
		.amdhsa_exception_fp_denorm_src 0
		.amdhsa_exception_fp_ieee_div_zero 0
		.amdhsa_exception_fp_ieee_overflow 0
		.amdhsa_exception_fp_ieee_underflow 0
		.amdhsa_exception_fp_ieee_inexact 0
		.amdhsa_exception_int_div_zero 0
	.end_amdhsa_kernel
	.section	.text._ZN9rocsolver6v33100L16mfma_gemm_kernelIdlPKdPdS4_PKS4_EEv18rocblas_operation_S7_T0_S8_S8_T1_T2_lS8_S8_lT3_lS8_S8_lS9_T4_lS8_S8_l,"axG",@progbits,_ZN9rocsolver6v33100L16mfma_gemm_kernelIdlPKdPdS4_PKS4_EEv18rocblas_operation_S7_T0_S8_S8_T1_T2_lS8_S8_lT3_lS8_S8_lS9_T4_lS8_S8_l,comdat
.Lfunc_end62:
	.size	_ZN9rocsolver6v33100L16mfma_gemm_kernelIdlPKdPdS4_PKS4_EEv18rocblas_operation_S7_T0_S8_S8_T1_T2_lS8_S8_lT3_lS8_S8_lS9_T4_lS8_S8_l, .Lfunc_end62-_ZN9rocsolver6v33100L16mfma_gemm_kernelIdlPKdPdS4_PKS4_EEv18rocblas_operation_S7_T0_S8_S8_T1_T2_lS8_S8_lT3_lS8_S8_lS9_T4_lS8_S8_l
                                        ; -- End function
	.section	.AMDGPU.csdata,"",@progbits
; Kernel info:
; codeLenInByte = 2232
; NumSgprs: 56
; NumVgprs: 37
; NumAgprs: 0
; TotalNumVgprs: 37
; ScratchSize: 0
; MemoryBound: 0
; FloatMode: 240
; IeeeMode: 1
; LDSByteSize: 0 bytes/workgroup (compile time only)
; SGPRBlocks: 6
; VGPRBlocks: 4
; NumSGPRsForWavesPerEU: 56
; NumVGPRsForWavesPerEU: 37
; AccumOffset: 40
; Occupancy: 8
; WaveLimiterHint : 1
; COMPUTE_PGM_RSRC2:SCRATCH_EN: 0
; COMPUTE_PGM_RSRC2:USER_SGPR: 6
; COMPUTE_PGM_RSRC2:TRAP_HANDLER: 0
; COMPUTE_PGM_RSRC2:TGID_X_EN: 1
; COMPUTE_PGM_RSRC2:TGID_Y_EN: 1
; COMPUTE_PGM_RSRC2:TGID_Z_EN: 1
; COMPUTE_PGM_RSRC2:TIDIG_COMP_CNT: 1
; COMPUTE_PGM_RSRC3_GFX90A:ACCUM_OFFSET: 9
; COMPUTE_PGM_RSRC3_GFX90A:TG_SPLIT: 0
	.section	.text._ZN9rocsolver6v33100L16mfma_gemm_kernelIdldPdS2_PKS2_EEv18rocblas_operation_S5_T0_S6_S6_T1_T2_lS6_S6_lT3_lS6_S6_lS7_T4_lS6_S6_l,"axG",@progbits,_ZN9rocsolver6v33100L16mfma_gemm_kernelIdldPdS2_PKS2_EEv18rocblas_operation_S5_T0_S6_S6_T1_T2_lS6_S6_lT3_lS6_S6_lS7_T4_lS6_S6_l,comdat
	.globl	_ZN9rocsolver6v33100L16mfma_gemm_kernelIdldPdS2_PKS2_EEv18rocblas_operation_S5_T0_S6_S6_T1_T2_lS6_S6_lT3_lS6_S6_lS7_T4_lS6_S6_l ; -- Begin function _ZN9rocsolver6v33100L16mfma_gemm_kernelIdldPdS2_PKS2_EEv18rocblas_operation_S5_T0_S6_S6_T1_T2_lS6_S6_lT3_lS6_S6_lS7_T4_lS6_S6_l
	.p2align	8
	.type	_ZN9rocsolver6v33100L16mfma_gemm_kernelIdldPdS2_PKS2_EEv18rocblas_operation_S5_T0_S6_S6_T1_T2_lS6_S6_lT3_lS6_S6_lS7_T4_lS6_S6_l,@function
_ZN9rocsolver6v33100L16mfma_gemm_kernelIdldPdS2_PKS2_EEv18rocblas_operation_S5_T0_S6_S6_T1_T2_lS6_S6_lT3_lS6_S6_lS7_T4_lS6_S6_l: ; @_ZN9rocsolver6v33100L16mfma_gemm_kernelIdldPdS2_PKS2_EEv18rocblas_operation_S5_T0_S6_S6_T1_T2_lS6_S6_lT3_lS6_S6_lS7_T4_lS6_S6_l
; %bb.0:
	s_load_dword s0, s[4:5], 0xb4
	s_load_dwordx16 s[12:27], s[4:5], 0x8
	v_and_b32_e32 v1, 0x3ff, v0
	v_lshrrev_b32_e32 v8, 6, v1
	v_mov_b32_e32 v9, 0
	s_waitcnt lgkmcnt(0)
	s_lshr_b32 s2, s0, 16
	s_bfe_u32 s0, s0, 0xa0006
	v_bfe_u32 v2, v0, 10, 10
	v_mov_b32_e32 v0, s6
	v_mov_b32_e32 v3, v9
	v_mad_u64_u32 v[22:23], s[0:1], s0, v0, v[8:9]
	v_mov_b32_e32 v0, s7
	v_mad_u64_u32 v[26:27], s[0:1], s2, v0, v[2:3]
	v_lshlrev_b64 v[12:13], 4, v[22:23]
	v_lshlrev_b64 v[14:15], 4, v[26:27]
	v_cmp_gt_i64_e32 vcc, s[12:13], v[12:13]
	v_cmp_gt_i64_e64 s[0:1], s[14:15], v[14:15]
	s_and_b64 s[0:1], vcc, s[0:1]
	s_and_saveexec_b64 s[2:3], s[0:1]
	s_cbranch_execz .LBB63_36
; %bb.1:
	s_load_dwordx16 s[36:51], s[4:5], 0x48
	v_add_co_u32_e32 v2, vcc, 16, v12
	v_addc_co_u32_e32 v3, vcc, 0, v13, vcc
	s_and_b32 s0, s12, 15
	v_mov_b32_e32 v0, s0
	v_cmp_lt_u64_e32 vcc, s[12:13], v[2:3]
	s_mov_b32 s9, 0
	s_and_b32 s0, s14, 15
	v_cndmask_b32_e32 v8, 16, v0, vcc
	v_mov_b32_e32 v0, s0
	s_lshl_b64 s[0:1], s[8:9], 3
	s_waitcnt lgkmcnt(0)
	s_add_u32 s0, s50, s0
	s_addc_u32 s1, s51, s1
	v_add_co_u32_e32 v2, vcc, 16, v14
	s_load_dwordx2 s[12:13], s[0:1], 0x0
	v_addc_co_u32_e32 v3, vcc, 0, v15, vcc
	v_cmp_lt_u64_e32 vcc, s[14:15], v[2:3]
	v_cndmask_b32_e32 v16, 16, v0, vcc
	v_mov_b32_e32 v17, v9
	v_bfe_u32 v18, v1, 2, 4
	v_mov_b32_e32 v19, v9
	v_cmp_lt_i64_e64 s[0:1], s[16:17], 1
	v_pk_mov_b32 v[6:7], 0, 0
	v_and_b32_e32 v25, 63, v1
	v_and_b32_e32 v10, 3, v1
	v_mov_b32_e32 v11, v9
	s_and_b64 vcc, exec, s[0:1]
	v_cmp_lt_u64_e64 s[0:1], v[18:19], v[16:17]
	v_mbcnt_lo_u32_b32 v34, -1, 0
	v_pk_mov_b32 v[4:5], v[6:7], v[6:7] op_sel:[0,1]
	v_pk_mov_b32 v[2:3], v[6:7], v[6:7] op_sel:[0,1]
	;; [unrolled: 1-line block ×3, first 2 shown]
	s_cbranch_vccnz .LBB63_28
; %bb.2:
	s_load_dwordx2 s[2:3], s[4:5], 0x0
	v_mov_b32_e32 v1, 0
	v_and_b32_e32 v0, 15, v25
	v_lshrrev_b32_e32 v20, 4, v25
	v_cmp_lt_u64_e64 s[6:7], v[0:1], v[8:9]
	s_waitcnt lgkmcnt(0)
	s_cmpk_lg_i32 s2, 0x6f
	s_cselect_b64 s[14:15], -1, 0
	s_cmpk_lg_i32 s3, 0x6f
	s_cselect_b64 s[28:29], -1, 0
	s_cmpk_eq_i32 s3, 0x6f
	s_cselect_b32 s9, s44, s42
	s_cselect_b32 s33, s45, s43
	s_cmpk_eq_i32 s2, 0x6f
	s_cselect_b32 s30, s24, s26
	s_cselect_b32 s31, s25, s27
	v_cmp_lt_u64_e64 s[10:11], v[0:1], v[16:17]
	v_mul_lo_u32 v1, s31, v22
	v_mul_lo_u32 v4, s30, v23
	v_mad_u64_u32 v[2:3], s[30:31], s30, v22, 0
	v_add3_u32 v3, v3, v4, v1
	v_mad_u64_u32 v[4:5], s[30:31], s26, v20, 0
	v_mov_b32_e32 v6, v5
	v_mad_u64_u32 v[6:7], s[30:31], s27, v20, v[6:7]
	v_mov_b32_e32 v5, v6
	v_lshlrev_b64 v[2:3], 7, v[2:3]
	v_lshlrev_b64 v[4:5], 3, v[4:5]
	s_mul_i32 s30, s37, s8
	s_mul_hi_u32 s31, s36, s8
	v_add_co_u32_e32 v1, vcc, v2, v4
	s_add_i32 s31, s31, s30
	s_mul_i32 s30, s36, s8
	v_addc_co_u32_e32 v4, vcc, v3, v5, vcc
	s_lshl_b64 s[34:35], s[30:31], 3
	v_mov_b32_e32 v23, s35
	v_add_co_u32_e32 v1, vcc, s34, v1
	v_addc_co_u32_e32 v21, vcc, v4, v23, vcc
	v_mad_u64_u32 v[4:5], s[30:31], s24, v0, 0
	v_mov_b32_e32 v6, v5
	v_mad_u64_u32 v[6:7], s[30:31], s25, v0, v[6:7]
	v_mov_b32_e32 v5, v6
	v_lshlrev_b64 v[4:5], 3, v[4:5]
	v_add_co_u32_e32 v1, vcc, v1, v4
	v_addc_co_u32_e32 v4, vcc, v21, v5, vcc
	v_mov_b32_e32 v5, s21
	v_add_co_u32_e32 v22, vcc, s20, v1
	v_addc_co_u32_e32 v21, vcc, v5, v4, vcc
	v_mad_u64_u32 v[4:5], s[36:37], s26, v18, 0
	v_mov_b32_e32 v6, v5
	s_lshl_b64 s[30:31], s[26:27], 5
	v_mad_u64_u32 v[6:7], s[26:27], s27, v18, v[6:7]
	v_mov_b32_e32 v5, v6
	v_lshlrev_b64 v[4:5], 3, v[4:5]
	v_add_co_u32_e32 v1, vcc, v2, v4
	v_addc_co_u32_e32 v2, vcc, v3, v5, vcc
	v_add_co_u32_e32 v1, vcc, s34, v1
	v_addc_co_u32_e32 v6, vcc, v2, v23, vcc
	v_mad_u64_u32 v[2:3], s[26:27], s24, v10, 0
	v_mov_b32_e32 v4, v3
	v_mad_u64_u32 v[4:5], s[26:27], s25, v10, v[4:5]
	v_mov_b32_e32 v3, v4
	v_lshlrev_b64 v[2:3], 3, v[2:3]
	v_add_co_u32_e32 v1, vcc, v1, v2
	v_addc_co_u32_e32 v2, vcc, v6, v3, vcc
	v_mov_b32_e32 v3, s21
	v_add_co_u32_e32 v24, vcc, s20, v1
	v_addc_co_u32_e32 v23, vcc, v3, v2, vcc
	s_lshl_b64 s[20:21], s[24:25], 5
	v_mul_lo_u32 v1, s33, v26
	v_mul_lo_u32 v4, s9, v27
	v_mad_u64_u32 v[2:3], s[24:25], s9, v26, 0
	v_add3_u32 v3, v3, v4, v1
	v_mad_u64_u32 v[4:5], s[24:25], s44, v18, 0
	v_mov_b32_e32 v6, v5
	v_mad_u64_u32 v[6:7], s[24:25], s45, v18, v[6:7]
	v_mov_b32_e32 v5, v6
	v_lshlrev_b64 v[2:3], 7, v[2:3]
	v_lshlrev_b64 v[4:5], 3, v[4:5]
	s_mul_i32 s9, s47, s8
	s_mul_hi_u32 s24, s46, s8
	v_add_co_u32_e32 v1, vcc, v2, v4
	s_add_i32 s9, s24, s9
	s_mul_i32 s8, s46, s8
	v_addc_co_u32_e32 v4, vcc, v3, v5, vcc
	s_lshl_b64 s[24:25], s[8:9], 3
	v_mov_b32_e32 v28, s25
	v_add_co_u32_e32 v1, vcc, s24, v1
	v_addc_co_u32_e32 v26, vcc, v4, v28, vcc
	v_mad_u64_u32 v[4:5], s[8:9], s42, v10, 0
	v_mov_b32_e32 v6, v5
	v_mad_u64_u32 v[6:7], s[8:9], s43, v10, v[6:7]
	v_mov_b32_e32 v5, v6
	s_lshl_b64 s[22:23], s[22:23], 3
	v_lshlrev_b64 v[4:5], 3, v[4:5]
	s_lshl_b64 s[8:9], s[40:41], 3
	v_add_co_u32_e32 v1, vcc, v1, v4
	s_add_u32 s33, s38, s8
	v_addc_co_u32_e32 v4, vcc, v26, v5, vcc
	s_addc_u32 s34, s39, s9
	v_mov_b32_e32 v5, s34
	v_add_co_u32_e32 v26, vcc, s33, v1
	v_addc_co_u32_e32 v27, vcc, v5, v4, vcc
	v_mad_u64_u32 v[4:5], s[26:27], s44, v20, 0
	v_mov_b32_e32 v6, v5
	v_mad_u64_u32 v[6:7], s[26:27], s45, v20, v[6:7]
	v_mov_b32_e32 v5, v6
	v_lshlrev_b64 v[4:5], 3, v[4:5]
	v_add_co_u32_e32 v1, vcc, v2, v4
	v_addc_co_u32_e32 v2, vcc, v3, v5, vcc
	v_add_co_u32_e32 v5, vcc, s24, v1
	v_addc_co_u32_e32 v6, vcc, v2, v28, vcc
	v_mad_u64_u32 v[2:3], s[24:25], s42, v0, 0
	v_mov_b32_e32 v4, v3
	v_lshl_or_b32 v30, v0, 2, v20
	v_mad_u64_u32 v[0:1], s[24:25], s43, v0, v[4:5]
	v_mov_b32_e32 v3, v0
	v_lshlrev_b64 v[0:1], 3, v[2:3]
	v_add_co_u32_e32 v0, vcc, v5, v0
	v_addc_co_u32_e32 v1, vcc, v6, v1, vcc
	v_mov_b32_e32 v2, s34
	v_add_co_u32_e32 v28, vcc, s33, v0
	v_addc_co_u32_e32 v29, vcc, v2, v1, vcc
	v_mbcnt_hi_u32_b32 v2, -1, v34
	v_pk_mov_b32 v[0:1], 0, 0
	v_and_or_b32 v2, v2, 64, v30
	v_cmp_lt_u64_e64 s[2:3], v[18:19], v[8:9]
	s_lshl_b64 s[8:9], s[42:43], 5
	s_lshl_b64 s[24:25], s[44:45], 5
	s_mov_b64 s[26:27], 0
	v_lshlrev_b32_e32 v35, 2, v2
	v_pk_mov_b32 v[2:3], v[0:1], v[0:1] op_sel:[0,1]
	v_pk_mov_b32 v[4:5], v[0:1], v[0:1] op_sel:[0,1]
	;; [unrolled: 1-line block ×3, first 2 shown]
	s_branch .LBB63_6
.LBB63_3:                               ;   in Loop: Header=BB63_6 Depth=1
	s_or_b64 exec, exec, s[36:37]
.LBB63_4:                               ;   in Loop: Header=BB63_6 Depth=1
	s_or_b64 exec, exec, s[34:35]
	s_waitcnt vmcnt(0)
	ds_bpermute_b32 v32, v35, v32
	ds_bpermute_b32 v33, v35, v33
.LBB63_5:                               ;   in Loop: Header=BB63_6 Depth=1
	v_mov_b32_e32 v36, s31
	v_add_co_u32_e32 v22, vcc, s30, v22
	v_addc_co_u32_e32 v21, vcc, v21, v36, vcc
	v_mov_b32_e32 v36, s21
	v_add_co_u32_e32 v24, vcc, s20, v24
	s_waitcnt vmcnt(0) lgkmcnt(0)
	v_mfma_f64_16x16x4f64 v[0:7], v[30:31], v[32:33], v[0:7]
	s_add_u32 s26, s26, 4
	s_addc_u32 s27, s27, 0
	v_addc_co_u32_e32 v23, vcc, v23, v36, vcc
	v_mov_b32_e32 v36, s9
	v_add_co_u32_e32 v26, vcc, s8, v26
	v_addc_co_u32_e32 v27, vcc, v27, v36, vcc
	v_mov_b32_e32 v30, s25
	v_add_co_u32_e32 v28, vcc, s24, v28
	v_addc_co_u32_e32 v29, vcc, v29, v30, vcc
	v_pk_mov_b32 v[30:31], s[16:17], s[16:17] op_sel:[0,1]
	v_cmp_ge_i64_e32 vcc, s[26:27], v[30:31]
	s_cbranch_vccnz .LBB63_28
.LBB63_6:                               ; =>This Inner Loop Header: Depth=1
	s_and_b64 vcc, exec, s[14:15]
	s_cbranch_vccz .LBB63_18
; %bb.7:                                ;   in Loop: Header=BB63_6 Depth=1
	v_pk_mov_b32 v[30:31], 0, 0
	s_and_saveexec_b64 s[34:35], s[2:3]
	s_cbranch_execz .LBB63_11
; %bb.8:                                ;   in Loop: Header=BB63_6 Depth=1
	v_mov_b32_e32 v31, s27
	v_add_co_u32_e32 v30, vcc, s26, v10
	v_addc_co_u32_e32 v31, vcc, 0, v31, vcc
	v_cmp_gt_i64_e32 vcc, s[16:17], v[30:31]
	v_pk_mov_b32 v[30:31], 0, 0
	s_and_saveexec_b64 s[36:37], vcc
	s_cbranch_execz .LBB63_10
; %bb.9:                                ;   in Loop: Header=BB63_6 Depth=1
	v_mov_b32_e32 v31, s23
	v_add_co_u32_e32 v30, vcc, s22, v24
	v_addc_co_u32_e32 v31, vcc, v23, v31, vcc
	global_load_dwordx2 v[30:31], v[30:31], off
.LBB63_10:                              ;   in Loop: Header=BB63_6 Depth=1
	s_or_b64 exec, exec, s[36:37]
.LBB63_11:                              ;   in Loop: Header=BB63_6 Depth=1
	s_or_b64 exec, exec, s[34:35]
	s_waitcnt vmcnt(0)
	ds_bpermute_b32 v30, v35, v30
	ds_bpermute_b32 v31, v35, v31
.LBB63_12:                              ;   in Loop: Header=BB63_6 Depth=1
	s_and_b64 vcc, exec, s[28:29]
	s_cbranch_vccz .LBB63_24
.LBB63_13:                              ;   in Loop: Header=BB63_6 Depth=1
	v_pk_mov_b32 v[32:33], 0, 0
	s_and_saveexec_b64 s[34:35], s[10:11]
	s_cbranch_execz .LBB63_17
; %bb.14:                               ;   in Loop: Header=BB63_6 Depth=1
	v_mov_b32_e32 v33, s27
	v_add_co_u32_e32 v32, vcc, s26, v20
	v_addc_co_u32_e32 v33, vcc, 0, v33, vcc
	v_cmp_gt_i64_e32 vcc, s[16:17], v[32:33]
	v_pk_mov_b32 v[32:33], 0, 0
	s_and_saveexec_b64 s[36:37], vcc
	s_cbranch_execz .LBB63_16
; %bb.15:                               ;   in Loop: Header=BB63_6 Depth=1
	global_load_dwordx2 v[32:33], v[28:29], off
.LBB63_16:                              ;   in Loop: Header=BB63_6 Depth=1
	s_or_b64 exec, exec, s[36:37]
.LBB63_17:                              ;   in Loop: Header=BB63_6 Depth=1
	s_or_b64 exec, exec, s[34:35]
	s_cbranch_execnz .LBB63_5
	s_branch .LBB63_25
.LBB63_18:                              ;   in Loop: Header=BB63_6 Depth=1
                                        ; implicit-def: $vgpr30_vgpr31
	s_cbranch_execz .LBB63_12
; %bb.19:                               ;   in Loop: Header=BB63_6 Depth=1
	s_waitcnt lgkmcnt(0)
	v_pk_mov_b32 v[30:31], 0, 0
	s_and_saveexec_b64 s[34:35], s[6:7]
	s_cbranch_execz .LBB63_23
; %bb.20:                               ;   in Loop: Header=BB63_6 Depth=1
	v_mov_b32_e32 v31, s27
	v_add_co_u32_e32 v30, vcc, s26, v20
	v_addc_co_u32_e32 v31, vcc, 0, v31, vcc
	v_cmp_gt_i64_e32 vcc, s[16:17], v[30:31]
	v_pk_mov_b32 v[30:31], 0, 0
	s_and_saveexec_b64 s[36:37], vcc
	s_cbranch_execz .LBB63_22
; %bb.21:                               ;   in Loop: Header=BB63_6 Depth=1
	v_mov_b32_e32 v31, s23
	v_add_co_u32_e32 v30, vcc, s22, v22
	v_addc_co_u32_e32 v31, vcc, v21, v31, vcc
	global_load_dwordx2 v[30:31], v[30:31], off
.LBB63_22:                              ;   in Loop: Header=BB63_6 Depth=1
	s_or_b64 exec, exec, s[36:37]
.LBB63_23:                              ;   in Loop: Header=BB63_6 Depth=1
	s_or_b64 exec, exec, s[34:35]
	s_and_b64 vcc, exec, s[28:29]
	s_cbranch_vccnz .LBB63_13
.LBB63_24:                              ;   in Loop: Header=BB63_6 Depth=1
                                        ; implicit-def: $vgpr32_vgpr33
.LBB63_25:                              ;   in Loop: Header=BB63_6 Depth=1
	s_waitcnt vmcnt(0)
	v_pk_mov_b32 v[32:33], 0, 0
	s_and_saveexec_b64 s[34:35], s[0:1]
	s_cbranch_execz .LBB63_4
; %bb.26:                               ;   in Loop: Header=BB63_6 Depth=1
	v_mov_b32_e32 v33, s27
	v_add_co_u32_e32 v32, vcc, s26, v10
	v_addc_co_u32_e32 v33, vcc, 0, v33, vcc
	v_cmp_gt_i64_e32 vcc, s[16:17], v[32:33]
	v_pk_mov_b32 v[32:33], 0, 0
	s_and_saveexec_b64 s[36:37], vcc
	s_cbranch_execz .LBB63_3
; %bb.27:                               ;   in Loop: Header=BB63_6 Depth=1
	global_load_dwordx2 v[32:33], v[26:27], off
	s_branch .LBB63_3
.LBB63_28:
	s_load_dwordx4 s[0:3], s[4:5], 0x88
	s_load_dwordx2 s[6:7], s[4:5], 0x98
	s_waitcnt lgkmcnt(0)
	s_lshl_b64 s[0:1], s[0:1], 3
	s_add_u32 s4, s12, s0
	v_mul_lo_u32 v20, v15, s6
	v_mul_lo_u32 v21, v14, s7
	s_addc_u32 s5, s13, s1
	v_mad_u64_u32 v[14:15], s[0:1], v14, s6, 0
	v_add3_u32 v15, v15, v21, v20
	v_mul_lo_u32 v20, v13, s2
	v_mul_lo_u32 v21, v12, s3
	v_mad_u64_u32 v[12:13], s[0:1], v12, s2, 0
	v_lshlrev_b64 v[14:15], 3, v[14:15]
	v_add3_u32 v13, v13, v21, v20
	v_mov_b32_e32 v20, s5
	v_add_co_u32_e32 v14, vcc, s4, v14
	v_addc_co_u32_e32 v15, vcc, v20, v15, vcc
	v_lshlrev_b64 v[12:13], 3, v[12:13]
	v_add_co_u32_e32 v20, vcc, v14, v12
	v_lshl_or_b32 v12, v25, 4, v18
	v_addc_co_u32_e32 v15, vcc, v15, v13, vcc
	v_mbcnt_hi_u32_b32 v13, -1, v34
	v_and_b32_e32 v12, 63, v12
	v_and_or_b32 v12, v13, 64, v12
	v_lshlrev_b32_e32 v14, 2, v12
	v_mad_u64_u32 v[12:13], s[0:1], v18, s6, 0
	v_cmp_lt_u64_e32 vcc, v[18:19], v[16:17]
	v_mov_b32_e32 v16, v13
	v_mad_u64_u32 v[16:17], s[0:1], v18, s7, v[16:17]
	v_mov_b32_e32 v13, v16
	v_lshlrev_b64 v[12:13], 3, v[12:13]
	ds_bpermute_b32 v0, v14, v0
	ds_bpermute_b32 v1, v14, v1
	v_add_co_u32_e64 v12, s[0:1], v20, v12
	v_addc_co_u32_e64 v13, s[0:1], v15, v13, s[0:1]
	v_cmp_lt_u64_e64 s[0:1], v[10:11], v[8:9]
	s_and_b64 s[0:1], vcc, s[0:1]
	s_and_saveexec_b64 s[4:5], s[0:1]
	s_cbranch_execz .LBB63_30
; %bb.29:
	v_mad_u64_u32 v[16:17], s[0:1], v10, s2, 0
	v_mov_b32_e32 v18, v17
	v_mad_u64_u32 v[18:19], s[0:1], v10, s3, v[18:19]
	v_mov_b32_e32 v17, v18
	v_lshlrev_b64 v[16:17], 3, v[16:17]
	v_add_co_u32_e64 v16, s[0:1], v12, v16
	v_addc_co_u32_e64 v17, s[0:1], v13, v17, s[0:1]
	global_load_dwordx2 v[18:19], v[16:17], off
	s_waitcnt vmcnt(0)
	v_mul_f64 v[18:19], v[18:19], s[48:49]
	s_waitcnt lgkmcnt(0)
	v_fmac_f64_e32 v[18:19], s[18:19], v[0:1]
	global_store_dwordx2 v[16:17], v[18:19], off
.LBB63_30:
	s_or_b64 exec, exec, s[4:5]
	s_waitcnt lgkmcnt(1)
	ds_bpermute_b32 v0, v14, v2
	s_waitcnt lgkmcnt(1)
	ds_bpermute_b32 v1, v14, v3
	v_or_b32_e32 v2, 4, v10
	v_mov_b32_e32 v3, v11
	v_cmp_lt_u64_e64 s[0:1], v[2:3], v[8:9]
	s_and_b64 s[0:1], vcc, s[0:1]
	s_and_saveexec_b64 s[4:5], s[0:1]
	s_cbranch_execz .LBB63_32
; %bb.31:
	v_mad_u64_u32 v[16:17], s[0:1], v2, s2, 0
	v_mov_b32_e32 v18, v17
	v_mad_u64_u32 v[2:3], s[0:1], v2, s3, v[18:19]
	v_mov_b32_e32 v17, v2
	v_lshlrev_b64 v[2:3], 3, v[16:17]
	v_add_co_u32_e64 v2, s[0:1], v12, v2
	v_addc_co_u32_e64 v3, s[0:1], v13, v3, s[0:1]
	global_load_dwordx2 v[16:17], v[2:3], off
	s_waitcnt vmcnt(0)
	v_mul_f64 v[16:17], v[16:17], s[48:49]
	s_waitcnt lgkmcnt(0)
	v_fmac_f64_e32 v[16:17], s[18:19], v[0:1]
	global_store_dwordx2 v[2:3], v[16:17], off
.LBB63_32:
	s_or_b64 exec, exec, s[4:5]
	s_waitcnt lgkmcnt(1)
	ds_bpermute_b32 v0, v14, v4
	s_waitcnt lgkmcnt(1)
	ds_bpermute_b32 v1, v14, v5
	v_or_b32_e32 v2, 8, v10
	v_mov_b32_e32 v3, v11
	v_cmp_lt_u64_e64 s[0:1], v[2:3], v[8:9]
	s_and_b64 s[0:1], vcc, s[0:1]
	s_and_saveexec_b64 s[4:5], s[0:1]
	s_cbranch_execz .LBB63_34
; %bb.33:
	v_mad_u64_u32 v[4:5], s[0:1], v2, s2, 0
	v_mov_b32_e32 v16, v5
	v_mad_u64_u32 v[2:3], s[0:1], v2, s3, v[16:17]
	v_mov_b32_e32 v5, v2
	v_lshlrev_b64 v[2:3], 3, v[4:5]
	v_add_co_u32_e64 v2, s[0:1], v12, v2
	v_addc_co_u32_e64 v3, s[0:1], v13, v3, s[0:1]
	global_load_dwordx2 v[4:5], v[2:3], off
	s_waitcnt vmcnt(0)
	v_mul_f64 v[4:5], v[4:5], s[48:49]
	s_waitcnt lgkmcnt(0)
	v_fmac_f64_e32 v[4:5], s[18:19], v[0:1]
	global_store_dwordx2 v[2:3], v[4:5], off
.LBB63_34:
	s_or_b64 exec, exec, s[4:5]
	s_waitcnt lgkmcnt(1)
	ds_bpermute_b32 v0, v14, v6
	s_waitcnt lgkmcnt(1)
	ds_bpermute_b32 v1, v14, v7
	v_or_b32_e32 v10, 12, v10
	v_cmp_lt_u64_e64 s[0:1], v[10:11], v[8:9]
	s_and_b64 s[0:1], vcc, s[0:1]
	s_and_b64 exec, exec, s[0:1]
	s_cbranch_execz .LBB63_36
; %bb.35:
	v_mad_u64_u32 v[2:3], s[0:1], v10, s2, 0
	v_mov_b32_e32 v4, v3
	v_mad_u64_u32 v[4:5], s[0:1], v10, s3, v[4:5]
	v_mov_b32_e32 v3, v4
	v_lshlrev_b64 v[2:3], 3, v[2:3]
	v_add_co_u32_e32 v2, vcc, v12, v2
	v_addc_co_u32_e32 v3, vcc, v13, v3, vcc
	global_load_dwordx2 v[4:5], v[2:3], off
	s_waitcnt vmcnt(0)
	v_mul_f64 v[4:5], v[4:5], s[48:49]
	s_waitcnt lgkmcnt(0)
	v_fmac_f64_e32 v[4:5], s[18:19], v[0:1]
	global_store_dwordx2 v[2:3], v[4:5], off
.LBB63_36:
	s_endpgm
	.section	.rodata,"a",@progbits
	.p2align	6, 0x0
	.amdhsa_kernel _ZN9rocsolver6v33100L16mfma_gemm_kernelIdldPdS2_PKS2_EEv18rocblas_operation_S5_T0_S6_S6_T1_T2_lS6_S6_lT3_lS6_S6_lS7_T4_lS6_S6_l
		.amdhsa_group_segment_fixed_size 0
		.amdhsa_private_segment_fixed_size 0
		.amdhsa_kernarg_size 424
		.amdhsa_user_sgpr_count 6
		.amdhsa_user_sgpr_private_segment_buffer 1
		.amdhsa_user_sgpr_dispatch_ptr 0
		.amdhsa_user_sgpr_queue_ptr 0
		.amdhsa_user_sgpr_kernarg_segment_ptr 1
		.amdhsa_user_sgpr_dispatch_id 0
		.amdhsa_user_sgpr_flat_scratch_init 0
		.amdhsa_user_sgpr_kernarg_preload_length 0
		.amdhsa_user_sgpr_kernarg_preload_offset 0
		.amdhsa_user_sgpr_private_segment_size 0
		.amdhsa_uses_dynamic_stack 0
		.amdhsa_system_sgpr_private_segment_wavefront_offset 0
		.amdhsa_system_sgpr_workgroup_id_x 1
		.amdhsa_system_sgpr_workgroup_id_y 1
		.amdhsa_system_sgpr_workgroup_id_z 1
		.amdhsa_system_sgpr_workgroup_info 0
		.amdhsa_system_vgpr_workitem_id 1
		.amdhsa_next_free_vgpr 37
		.amdhsa_next_free_sgpr 52
		.amdhsa_accum_offset 40
		.amdhsa_reserve_vcc 1
		.amdhsa_reserve_flat_scratch 0
		.amdhsa_float_round_mode_32 0
		.amdhsa_float_round_mode_16_64 0
		.amdhsa_float_denorm_mode_32 3
		.amdhsa_float_denorm_mode_16_64 3
		.amdhsa_dx10_clamp 1
		.amdhsa_ieee_mode 1
		.amdhsa_fp16_overflow 0
		.amdhsa_tg_split 0
		.amdhsa_exception_fp_ieee_invalid_op 0
		.amdhsa_exception_fp_denorm_src 0
		.amdhsa_exception_fp_ieee_div_zero 0
		.amdhsa_exception_fp_ieee_overflow 0
		.amdhsa_exception_fp_ieee_underflow 0
		.amdhsa_exception_fp_ieee_inexact 0
		.amdhsa_exception_int_div_zero 0
	.end_amdhsa_kernel
	.section	.text._ZN9rocsolver6v33100L16mfma_gemm_kernelIdldPdS2_PKS2_EEv18rocblas_operation_S5_T0_S6_S6_T1_T2_lS6_S6_lT3_lS6_S6_lS7_T4_lS6_S6_l,"axG",@progbits,_ZN9rocsolver6v33100L16mfma_gemm_kernelIdldPdS2_PKS2_EEv18rocblas_operation_S5_T0_S6_S6_T1_T2_lS6_S6_lT3_lS6_S6_lS7_T4_lS6_S6_l,comdat
.Lfunc_end63:
	.size	_ZN9rocsolver6v33100L16mfma_gemm_kernelIdldPdS2_PKS2_EEv18rocblas_operation_S5_T0_S6_S6_T1_T2_lS6_S6_lT3_lS6_S6_lS7_T4_lS6_S6_l, .Lfunc_end63-_ZN9rocsolver6v33100L16mfma_gemm_kernelIdldPdS2_PKS2_EEv18rocblas_operation_S5_T0_S6_S6_T1_T2_lS6_S6_lT3_lS6_S6_lS7_T4_lS6_S6_l
                                        ; -- End function
	.section	.AMDGPU.csdata,"",@progbits
; Kernel info:
; codeLenInByte = 2216
; NumSgprs: 56
; NumVgprs: 37
; NumAgprs: 0
; TotalNumVgprs: 37
; ScratchSize: 0
; MemoryBound: 0
; FloatMode: 240
; IeeeMode: 1
; LDSByteSize: 0 bytes/workgroup (compile time only)
; SGPRBlocks: 6
; VGPRBlocks: 4
; NumSGPRsForWavesPerEU: 56
; NumVGPRsForWavesPerEU: 37
; AccumOffset: 40
; Occupancy: 8
; WaveLimiterHint : 1
; COMPUTE_PGM_RSRC2:SCRATCH_EN: 0
; COMPUTE_PGM_RSRC2:USER_SGPR: 6
; COMPUTE_PGM_RSRC2:TRAP_HANDLER: 0
; COMPUTE_PGM_RSRC2:TGID_X_EN: 1
; COMPUTE_PGM_RSRC2:TGID_Y_EN: 1
; COMPUTE_PGM_RSRC2:TGID_Z_EN: 1
; COMPUTE_PGM_RSRC2:TIDIG_COMP_CNT: 1
; COMPUTE_PGM_RSRC3_GFX90A:ACCUM_OFFSET: 9
; COMPUTE_PGM_RSRC3_GFX90A:TG_SPLIT: 0
	.section	.text._ZN9rocsolver6v33100L11gemm_kernelIdlPKdPdS4_PKS4_EEvT0_S7_S7_T1_bT2_lS7_S7_lbT3_lS7_S7_lS8_T4_lS7_S7_l,"axG",@progbits,_ZN9rocsolver6v33100L11gemm_kernelIdlPKdPdS4_PKS4_EEvT0_S7_S7_T1_bT2_lS7_S7_lbT3_lS7_S7_lS8_T4_lS7_S7_l,comdat
	.globl	_ZN9rocsolver6v33100L11gemm_kernelIdlPKdPdS4_PKS4_EEvT0_S7_S7_T1_bT2_lS7_S7_lbT3_lS7_S7_lS8_T4_lS7_S7_l ; -- Begin function _ZN9rocsolver6v33100L11gemm_kernelIdlPKdPdS4_PKS4_EEvT0_S7_S7_T1_bT2_lS7_S7_lbT3_lS7_S7_lS8_T4_lS7_S7_l
	.p2align	8
	.type	_ZN9rocsolver6v33100L11gemm_kernelIdlPKdPdS4_PKS4_EEvT0_S7_S7_T1_bT2_lS7_S7_lbT3_lS7_S7_lS8_T4_lS7_S7_l,@function
_ZN9rocsolver6v33100L11gemm_kernelIdlPKdPdS4_PKS4_EEvT0_S7_S7_T1_bT2_lS7_S7_lbT3_lS7_S7_lS8_T4_lS7_S7_l: ; @_ZN9rocsolver6v33100L11gemm_kernelIdlPKdPdS4_PKS4_EEvT0_S7_S7_T1_bT2_lS7_S7_lbT3_lS7_S7_lS8_T4_lS7_S7_l
; %bb.0:
	s_load_dword s0, s[4:5], 0xbc
	s_load_dwordx8 s[24:31], s[4:5], 0x0
	v_and_b32_e32 v4, 0x3ff, v0
	v_mov_b32_e32 v5, 0
	v_mov_b32_e32 v1, s6
	s_waitcnt lgkmcnt(0)
	s_lshr_b32 s2, s0, 16
	s_and_b32 s0, s0, 0xffff
	v_mad_u64_u32 v[2:3], s[0:1], s0, v1, v[4:5]
	v_bfe_u32 v4, v0, 10, 10
	v_mov_b32_e32 v0, s7
	v_mad_u64_u32 v[0:1], s[0:1], s2, v0, v[4:5]
	v_cmp_gt_i64_e32 vcc, s[24:25], v[2:3]
	v_cmp_gt_i64_e64 s[0:1], s[26:27], v[0:1]
	s_mov_b32 s9, 0
	s_and_b64 s[0:1], vcc, s[0:1]
	s_and_saveexec_b64 s[2:3], s[0:1]
	s_cbranch_execz .LBB64_6
; %bb.1:
	s_load_dwordx16 s[12:27], s[4:5], 0x58
	s_lshl_b64 s[0:1], s[8:9], 3
	v_cmp_lt_i64_e64 s[2:3], s[28:29], 1
	s_waitcnt lgkmcnt(0)
	s_add_u32 s0, s24, s0
	s_addc_u32 s1, s25, s1
	s_load_dwordx2 s[0:1], s[0:1], 0x0
	s_and_b64 vcc, exec, s[2:3]
	s_cbranch_vccnz .LBB64_4
; %bb.2:
	s_load_dwordx2 s[2:3], s[4:5], 0x48
	s_load_dwordx8 s[36:43], s[4:5], 0x28
	v_mul_lo_u32 v8, v1, s18
	v_mul_lo_u32 v9, v0, s19
	s_waitcnt lgkmcnt(0)
	s_mul_i32 s3, s8, s3
	s_mul_hi_u32 s6, s8, s2
	s_mul_i32 s2, s8, s2
	s_add_i32 s3, s6, s3
	s_lshl_b64 s[2:3], s[2:3], 3
	s_add_u32 s6, s36, s2
	s_addc_u32 s7, s37, s3
	s_lshl_b64 s[2:3], s[38:39], 3
	s_add_u32 s6, s6, s2
	s_addc_u32 s7, s7, s3
	s_mul_i32 s2, s8, s21
	s_mul_hi_u32 s3, s8, s20
	s_add_i32 s3, s3, s2
	s_mul_i32 s2, s8, s20
	s_lshl_b64 s[2:3], s[2:3], 3
	s_add_u32 s8, s12, s2
	s_addc_u32 s9, s13, s3
	s_lshl_b64 s[2:3], s[14:15], 3
	s_add_u32 s8, s8, s2
	s_addc_u32 s9, s9, s3
	v_mul_lo_u32 v6, v3, s40
	v_mul_lo_u32 v7, v2, s41
	v_mad_u64_u32 v[4:5], s[2:3], v2, s40, 0
	v_add3_u32 v5, v5, v7, v6
	v_lshlrev_b64 v[4:5], 3, v[4:5]
	v_mov_b32_e32 v7, s7
	v_add_co_u32_e32 v6, vcc, s6, v4
	v_addc_co_u32_e32 v7, vcc, v7, v5, vcc
	v_mad_u64_u32 v[4:5], s[2:3], v0, s18, 0
	v_add3_u32 v5, v5, v9, v8
	v_lshlrev_b64 v[4:5], 3, v[4:5]
	v_mov_b32_e32 v9, s9
	v_add_co_u32_e32 v8, vcc, s8, v4
	s_lshl_b64 s[2:3], s[16:17], 3
	s_lshl_b64 s[6:7], s[42:43], 3
	v_addc_co_u32_e32 v9, vcc, v9, v5, vcc
	v_pk_mov_b32 v[4:5], 0, 0
	v_mov_b32_e32 v10, s3
	v_mov_b32_e32 v11, s7
.LBB64_3:                               ; =>This Inner Loop Header: Depth=1
	global_load_dwordx2 v[12:13], v[6:7], off
	global_load_dwordx2 v[14:15], v[8:9], off
	v_add_co_u32_e32 v8, vcc, s2, v8
	v_addc_co_u32_e32 v9, vcc, v9, v10, vcc
	s_add_u32 s28, s28, -1
	v_add_co_u32_e32 v6, vcc, s6, v6
	s_addc_u32 s29, s29, -1
	v_addc_co_u32_e32 v7, vcc, v7, v11, vcc
	s_cmp_eq_u64 s[28:29], 0
	s_waitcnt vmcnt(0)
	v_fmac_f64_e32 v[4:5], v[12:13], v[14:15]
	s_cbranch_scc0 .LBB64_3
	s_branch .LBB64_5
.LBB64_4:
	v_pk_mov_b32 v[4:5], 0, 0
.LBB64_5:
	s_load_dwordx2 s[2:3], s[30:31], 0x0
	s_load_dwordx2 s[6:7], s[22:23], 0x0
                                        ; kill: killed $sgpr30_sgpr31
                                        ; kill: killed $sgpr22_sgpr23
	s_load_dwordx4 s[8:11], s[4:5], 0x98
	s_lshl_b64 s[4:5], s[26:27], 3
	s_waitcnt lgkmcnt(0)
	s_add_u32 s4, s0, s4
	s_addc_u32 s5, s1, s5
	v_mul_lo_u32 v6, v3, s8
	v_mul_lo_u32 v7, v2, s9
	v_mad_u64_u32 v[2:3], s[0:1], v2, s8, 0
	v_add3_u32 v3, v3, v7, v6
	v_mul_lo_u32 v6, v1, s10
	v_mul_lo_u32 v7, v0, s11
	v_mad_u64_u32 v[0:1], s[0:1], v0, s10, 0
	v_lshlrev_b64 v[2:3], 3, v[2:3]
	v_add3_u32 v1, v1, v7, v6
	v_mov_b32_e32 v6, s5
	v_add_co_u32_e32 v2, vcc, s4, v2
	v_addc_co_u32_e32 v3, vcc, v6, v3, vcc
	v_lshlrev_b64 v[0:1], 3, v[0:1]
	v_add_co_u32_e32 v0, vcc, v2, v0
	v_addc_co_u32_e32 v1, vcc, v3, v1, vcc
	global_load_dwordx2 v[2:3], v[0:1], off
	s_waitcnt vmcnt(0)
	v_mul_f64 v[2:3], s[6:7], v[2:3]
	v_fmac_f64_e32 v[2:3], s[2:3], v[4:5]
	global_store_dwordx2 v[0:1], v[2:3], off
.LBB64_6:
	s_endpgm
	.section	.rodata,"a",@progbits
	.p2align	6, 0x0
	.amdhsa_kernel _ZN9rocsolver6v33100L11gemm_kernelIdlPKdPdS4_PKS4_EEvT0_S7_S7_T1_bT2_lS7_S7_lbT3_lS7_S7_lS8_T4_lS7_S7_l
		.amdhsa_group_segment_fixed_size 0
		.amdhsa_private_segment_fixed_size 0
		.amdhsa_kernarg_size 432
		.amdhsa_user_sgpr_count 6
		.amdhsa_user_sgpr_private_segment_buffer 1
		.amdhsa_user_sgpr_dispatch_ptr 0
		.amdhsa_user_sgpr_queue_ptr 0
		.amdhsa_user_sgpr_kernarg_segment_ptr 1
		.amdhsa_user_sgpr_dispatch_id 0
		.amdhsa_user_sgpr_flat_scratch_init 0
		.amdhsa_user_sgpr_kernarg_preload_length 0
		.amdhsa_user_sgpr_kernarg_preload_offset 0
		.amdhsa_user_sgpr_private_segment_size 0
		.amdhsa_uses_dynamic_stack 0
		.amdhsa_system_sgpr_private_segment_wavefront_offset 0
		.amdhsa_system_sgpr_workgroup_id_x 1
		.amdhsa_system_sgpr_workgroup_id_y 1
		.amdhsa_system_sgpr_workgroup_id_z 1
		.amdhsa_system_sgpr_workgroup_info 0
		.amdhsa_system_vgpr_workitem_id 1
		.amdhsa_next_free_vgpr 16
		.amdhsa_next_free_sgpr 44
		.amdhsa_accum_offset 16
		.amdhsa_reserve_vcc 1
		.amdhsa_reserve_flat_scratch 0
		.amdhsa_float_round_mode_32 0
		.amdhsa_float_round_mode_16_64 0
		.amdhsa_float_denorm_mode_32 3
		.amdhsa_float_denorm_mode_16_64 3
		.amdhsa_dx10_clamp 1
		.amdhsa_ieee_mode 1
		.amdhsa_fp16_overflow 0
		.amdhsa_tg_split 0
		.amdhsa_exception_fp_ieee_invalid_op 0
		.amdhsa_exception_fp_denorm_src 0
		.amdhsa_exception_fp_ieee_div_zero 0
		.amdhsa_exception_fp_ieee_overflow 0
		.amdhsa_exception_fp_ieee_underflow 0
		.amdhsa_exception_fp_ieee_inexact 0
		.amdhsa_exception_int_div_zero 0
	.end_amdhsa_kernel
	.section	.text._ZN9rocsolver6v33100L11gemm_kernelIdlPKdPdS4_PKS4_EEvT0_S7_S7_T1_bT2_lS7_S7_lbT3_lS7_S7_lS8_T4_lS7_S7_l,"axG",@progbits,_ZN9rocsolver6v33100L11gemm_kernelIdlPKdPdS4_PKS4_EEvT0_S7_S7_T1_bT2_lS7_S7_lbT3_lS7_S7_lS8_T4_lS7_S7_l,comdat
.Lfunc_end64:
	.size	_ZN9rocsolver6v33100L11gemm_kernelIdlPKdPdS4_PKS4_EEvT0_S7_S7_T1_bT2_lS7_S7_lbT3_lS7_S7_lS8_T4_lS7_S7_l, .Lfunc_end64-_ZN9rocsolver6v33100L11gemm_kernelIdlPKdPdS4_PKS4_EEvT0_S7_S7_T1_bT2_lS7_S7_lbT3_lS7_S7_lS8_T4_lS7_S7_l
                                        ; -- End function
	.section	.AMDGPU.csdata,"",@progbits
; Kernel info:
; codeLenInByte = 624
; NumSgprs: 48
; NumVgprs: 16
; NumAgprs: 0
; TotalNumVgprs: 16
; ScratchSize: 0
; MemoryBound: 0
; FloatMode: 240
; IeeeMode: 1
; LDSByteSize: 0 bytes/workgroup (compile time only)
; SGPRBlocks: 5
; VGPRBlocks: 1
; NumSGPRsForWavesPerEU: 48
; NumVGPRsForWavesPerEU: 16
; AccumOffset: 16
; Occupancy: 8
; WaveLimiterHint : 1
; COMPUTE_PGM_RSRC2:SCRATCH_EN: 0
; COMPUTE_PGM_RSRC2:USER_SGPR: 6
; COMPUTE_PGM_RSRC2:TRAP_HANDLER: 0
; COMPUTE_PGM_RSRC2:TGID_X_EN: 1
; COMPUTE_PGM_RSRC2:TGID_Y_EN: 1
; COMPUTE_PGM_RSRC2:TGID_Z_EN: 1
; COMPUTE_PGM_RSRC2:TIDIG_COMP_CNT: 1
; COMPUTE_PGM_RSRC3_GFX90A:ACCUM_OFFSET: 3
; COMPUTE_PGM_RSRC3_GFX90A:TG_SPLIT: 0
	.section	.text._ZN9rocsolver6v33100L11gemm_kernelIdldPdS2_PKS2_EEvT0_S5_S5_T1_bT2_lS5_S5_lbT3_lS5_S5_lS6_T4_lS5_S5_l,"axG",@progbits,_ZN9rocsolver6v33100L11gemm_kernelIdldPdS2_PKS2_EEvT0_S5_S5_T1_bT2_lS5_S5_lbT3_lS5_S5_lS6_T4_lS5_S5_l,comdat
	.globl	_ZN9rocsolver6v33100L11gemm_kernelIdldPdS2_PKS2_EEvT0_S5_S5_T1_bT2_lS5_S5_lbT3_lS5_S5_lS6_T4_lS5_S5_l ; -- Begin function _ZN9rocsolver6v33100L11gemm_kernelIdldPdS2_PKS2_EEvT0_S5_S5_T1_bT2_lS5_S5_lbT3_lS5_S5_lS6_T4_lS5_S5_l
	.p2align	8
	.type	_ZN9rocsolver6v33100L11gemm_kernelIdldPdS2_PKS2_EEvT0_S5_S5_T1_bT2_lS5_S5_lbT3_lS5_S5_lS6_T4_lS5_S5_l,@function
_ZN9rocsolver6v33100L11gemm_kernelIdldPdS2_PKS2_EEvT0_S5_S5_T1_bT2_lS5_S5_lbT3_lS5_S5_lS6_T4_lS5_S5_l: ; @_ZN9rocsolver6v33100L11gemm_kernelIdldPdS2_PKS2_EEvT0_S5_S5_T1_bT2_lS5_S5_lbT3_lS5_S5_lS6_T4_lS5_S5_l
; %bb.0:
	s_load_dword s0, s[4:5], 0xbc
	s_load_dwordx8 s[24:31], s[4:5], 0x0
	v_and_b32_e32 v4, 0x3ff, v0
	v_mov_b32_e32 v5, 0
	v_mov_b32_e32 v1, s6
	s_waitcnt lgkmcnt(0)
	s_lshr_b32 s2, s0, 16
	s_and_b32 s0, s0, 0xffff
	v_mad_u64_u32 v[2:3], s[0:1], s0, v1, v[4:5]
	v_bfe_u32 v4, v0, 10, 10
	v_mov_b32_e32 v0, s7
	v_mad_u64_u32 v[0:1], s[0:1], s2, v0, v[4:5]
	v_cmp_gt_i64_e32 vcc, s[24:25], v[2:3]
	v_cmp_gt_i64_e64 s[0:1], s[26:27], v[0:1]
	s_mov_b32 s9, 0
	s_and_b64 s[0:1], vcc, s[0:1]
	s_and_saveexec_b64 s[2:3], s[0:1]
	s_cbranch_execz .LBB65_6
; %bb.1:
	s_load_dwordx16 s[12:27], s[4:5], 0x58
	s_lshl_b64 s[0:1], s[8:9], 3
	v_cmp_lt_i64_e64 s[2:3], s[28:29], 1
	s_waitcnt lgkmcnt(0)
	s_add_u32 s0, s24, s0
	s_addc_u32 s1, s25, s1
	s_load_dwordx2 s[0:1], s[0:1], 0x0
	s_and_b64 vcc, exec, s[2:3]
	s_cbranch_vccnz .LBB65_4
; %bb.2:
	s_load_dwordx2 s[2:3], s[4:5], 0x48
	s_load_dwordx8 s[36:43], s[4:5], 0x28
	v_mul_lo_u32 v8, v1, s18
	v_mul_lo_u32 v9, v0, s19
	s_waitcnt lgkmcnt(0)
	s_mul_i32 s3, s8, s3
	s_mul_hi_u32 s6, s8, s2
	s_mul_i32 s2, s8, s2
	s_add_i32 s3, s6, s3
	s_lshl_b64 s[2:3], s[2:3], 3
	s_add_u32 s6, s36, s2
	s_addc_u32 s7, s37, s3
	s_lshl_b64 s[2:3], s[38:39], 3
	s_add_u32 s6, s6, s2
	s_addc_u32 s7, s7, s3
	s_mul_i32 s2, s8, s21
	s_mul_hi_u32 s3, s8, s20
	s_add_i32 s3, s3, s2
	s_mul_i32 s2, s8, s20
	s_lshl_b64 s[2:3], s[2:3], 3
	s_add_u32 s8, s12, s2
	s_addc_u32 s9, s13, s3
	s_lshl_b64 s[2:3], s[14:15], 3
	s_add_u32 s8, s8, s2
	s_addc_u32 s9, s9, s3
	v_mul_lo_u32 v6, v3, s40
	v_mul_lo_u32 v7, v2, s41
	v_mad_u64_u32 v[4:5], s[2:3], v2, s40, 0
	v_add3_u32 v5, v5, v7, v6
	v_lshlrev_b64 v[4:5], 3, v[4:5]
	v_mov_b32_e32 v7, s7
	v_add_co_u32_e32 v6, vcc, s6, v4
	v_addc_co_u32_e32 v7, vcc, v7, v5, vcc
	v_mad_u64_u32 v[4:5], s[2:3], v0, s18, 0
	v_add3_u32 v5, v5, v9, v8
	v_lshlrev_b64 v[4:5], 3, v[4:5]
	v_mov_b32_e32 v9, s9
	v_add_co_u32_e32 v8, vcc, s8, v4
	s_lshl_b64 s[2:3], s[16:17], 3
	s_lshl_b64 s[6:7], s[42:43], 3
	v_addc_co_u32_e32 v9, vcc, v9, v5, vcc
	v_pk_mov_b32 v[4:5], 0, 0
	v_mov_b32_e32 v10, s3
	v_mov_b32_e32 v11, s7
.LBB65_3:                               ; =>This Inner Loop Header: Depth=1
	global_load_dwordx2 v[12:13], v[6:7], off
	global_load_dwordx2 v[14:15], v[8:9], off
	v_add_co_u32_e32 v8, vcc, s2, v8
	v_addc_co_u32_e32 v9, vcc, v9, v10, vcc
	s_add_u32 s28, s28, -1
	v_add_co_u32_e32 v6, vcc, s6, v6
	s_addc_u32 s29, s29, -1
	v_addc_co_u32_e32 v7, vcc, v7, v11, vcc
	s_cmp_eq_u64 s[28:29], 0
	s_waitcnt vmcnt(0)
	v_fmac_f64_e32 v[4:5], v[12:13], v[14:15]
	s_cbranch_scc0 .LBB65_3
	s_branch .LBB65_5
.LBB65_4:
	v_pk_mov_b32 v[4:5], 0, 0
.LBB65_5:
	s_load_dwordx4 s[4:7], s[4:5], 0x98
	s_lshl_b64 s[2:3], s[26:27], 3
	s_waitcnt lgkmcnt(0)
	s_add_u32 s2, s0, s2
	s_addc_u32 s3, s1, s3
	v_mul_lo_u32 v6, v3, s4
	v_mul_lo_u32 v7, v2, s5
	v_mad_u64_u32 v[2:3], s[0:1], v2, s4, 0
	v_add3_u32 v3, v3, v7, v6
	v_mul_lo_u32 v6, v1, s6
	v_mul_lo_u32 v7, v0, s7
	v_mad_u64_u32 v[0:1], s[0:1], v0, s6, 0
	v_lshlrev_b64 v[2:3], 3, v[2:3]
	v_add3_u32 v1, v1, v7, v6
	v_mov_b32_e32 v6, s3
	v_add_co_u32_e32 v2, vcc, s2, v2
	v_addc_co_u32_e32 v3, vcc, v6, v3, vcc
	v_lshlrev_b64 v[0:1], 3, v[0:1]
	v_add_co_u32_e32 v0, vcc, v2, v0
	v_addc_co_u32_e32 v1, vcc, v3, v1, vcc
	global_load_dwordx2 v[2:3], v[0:1], off
	s_waitcnt vmcnt(0)
	v_mul_f64 v[2:3], v[2:3], s[22:23]
	v_fmac_f64_e32 v[2:3], s[30:31], v[4:5]
	global_store_dwordx2 v[0:1], v[2:3], off
.LBB65_6:
	s_endpgm
	.section	.rodata,"a",@progbits
	.p2align	6, 0x0
	.amdhsa_kernel _ZN9rocsolver6v33100L11gemm_kernelIdldPdS2_PKS2_EEvT0_S5_S5_T1_bT2_lS5_S5_lbT3_lS5_S5_lS6_T4_lS5_S5_l
		.amdhsa_group_segment_fixed_size 0
		.amdhsa_private_segment_fixed_size 0
		.amdhsa_kernarg_size 432
		.amdhsa_user_sgpr_count 6
		.amdhsa_user_sgpr_private_segment_buffer 1
		.amdhsa_user_sgpr_dispatch_ptr 0
		.amdhsa_user_sgpr_queue_ptr 0
		.amdhsa_user_sgpr_kernarg_segment_ptr 1
		.amdhsa_user_sgpr_dispatch_id 0
		.amdhsa_user_sgpr_flat_scratch_init 0
		.amdhsa_user_sgpr_kernarg_preload_length 0
		.amdhsa_user_sgpr_kernarg_preload_offset 0
		.amdhsa_user_sgpr_private_segment_size 0
		.amdhsa_uses_dynamic_stack 0
		.amdhsa_system_sgpr_private_segment_wavefront_offset 0
		.amdhsa_system_sgpr_workgroup_id_x 1
		.amdhsa_system_sgpr_workgroup_id_y 1
		.amdhsa_system_sgpr_workgroup_id_z 1
		.amdhsa_system_sgpr_workgroup_info 0
		.amdhsa_system_vgpr_workitem_id 1
		.amdhsa_next_free_vgpr 16
		.amdhsa_next_free_sgpr 44
		.amdhsa_accum_offset 16
		.amdhsa_reserve_vcc 1
		.amdhsa_reserve_flat_scratch 0
		.amdhsa_float_round_mode_32 0
		.amdhsa_float_round_mode_16_64 0
		.amdhsa_float_denorm_mode_32 3
		.amdhsa_float_denorm_mode_16_64 3
		.amdhsa_dx10_clamp 1
		.amdhsa_ieee_mode 1
		.amdhsa_fp16_overflow 0
		.amdhsa_tg_split 0
		.amdhsa_exception_fp_ieee_invalid_op 0
		.amdhsa_exception_fp_denorm_src 0
		.amdhsa_exception_fp_ieee_div_zero 0
		.amdhsa_exception_fp_ieee_overflow 0
		.amdhsa_exception_fp_ieee_underflow 0
		.amdhsa_exception_fp_ieee_inexact 0
		.amdhsa_exception_int_div_zero 0
	.end_amdhsa_kernel
	.section	.text._ZN9rocsolver6v33100L11gemm_kernelIdldPdS2_PKS2_EEvT0_S5_S5_T1_bT2_lS5_S5_lbT3_lS5_S5_lS6_T4_lS5_S5_l,"axG",@progbits,_ZN9rocsolver6v33100L11gemm_kernelIdldPdS2_PKS2_EEvT0_S5_S5_T1_bT2_lS5_S5_lbT3_lS5_S5_lS6_T4_lS5_S5_l,comdat
.Lfunc_end65:
	.size	_ZN9rocsolver6v33100L11gemm_kernelIdldPdS2_PKS2_EEvT0_S5_S5_T1_bT2_lS5_S5_lbT3_lS5_S5_lS6_T4_lS5_S5_l, .Lfunc_end65-_ZN9rocsolver6v33100L11gemm_kernelIdldPdS2_PKS2_EEvT0_S5_S5_T1_bT2_lS5_S5_lbT3_lS5_S5_lS6_T4_lS5_S5_l
                                        ; -- End function
	.section	.AMDGPU.csdata,"",@progbits
; Kernel info:
; codeLenInByte = 608
; NumSgprs: 48
; NumVgprs: 16
; NumAgprs: 0
; TotalNumVgprs: 16
; ScratchSize: 0
; MemoryBound: 0
; FloatMode: 240
; IeeeMode: 1
; LDSByteSize: 0 bytes/workgroup (compile time only)
; SGPRBlocks: 5
; VGPRBlocks: 1
; NumSGPRsForWavesPerEU: 48
; NumVGPRsForWavesPerEU: 16
; AccumOffset: 16
; Occupancy: 8
; WaveLimiterHint : 1
; COMPUTE_PGM_RSRC2:SCRATCH_EN: 0
; COMPUTE_PGM_RSRC2:USER_SGPR: 6
; COMPUTE_PGM_RSRC2:TRAP_HANDLER: 0
; COMPUTE_PGM_RSRC2:TGID_X_EN: 1
; COMPUTE_PGM_RSRC2:TGID_Y_EN: 1
; COMPUTE_PGM_RSRC2:TGID_Z_EN: 1
; COMPUTE_PGM_RSRC2:TIDIG_COMP_CNT: 1
; COMPUTE_PGM_RSRC3_GFX90A:ACCUM_OFFSET: 3
; COMPUTE_PGM_RSRC3_GFX90A:TG_SPLIT: 0
	.text
	.p2alignl 6, 3212836864
	.fill 256, 4, 3212836864
	.type	__hip_cuid_7800e02c88387b4d,@object ; @__hip_cuid_7800e02c88387b4d
	.section	.bss,"aw",@nobits
	.globl	__hip_cuid_7800e02c88387b4d
__hip_cuid_7800e02c88387b4d:
	.byte	0                               ; 0x0
	.size	__hip_cuid_7800e02c88387b4d, 1

	.ident	"AMD clang version 19.0.0git (https://github.com/RadeonOpenCompute/llvm-project roc-6.4.0 25133 c7fe45cf4b819c5991fe208aaa96edf142730f1d)"
	.section	".note.GNU-stack","",@progbits
	.addrsig
	.addrsig_sym __hip_cuid_7800e02c88387b4d
	.amdgpu_metadata
---
amdhsa.kernels:
  - .agpr_count:     0
    .args:
      - .offset:         0
        .size:           4
        .value_kind:     by_value
      - .offset:         4
        .size:           4
        .value_kind:     by_value
      - .offset:         8
        .size:           4
        .value_kind:     by_value
      - .offset:         12
        .size:           4
        .value_kind:     by_value
      - .offset:         16
        .size:           4
        .value_kind:     by_value
      - .address_space:  global
        .offset:         24
        .size:           8
        .value_kind:     global_buffer
      - .address_space:  global
        .offset:         32
        .size:           8
        .value_kind:     global_buffer
      - .offset:         40
        .size:           8
        .value_kind:     by_value
      - .offset:         48
        .size:           4
        .value_kind:     by_value
      - .offset:         52
        .size:           4
        .value_kind:     by_value
      - .offset:         56
        .size:           8
        .value_kind:     by_value
      - .address_space:  global
        .offset:         64
        .size:           8
        .value_kind:     global_buffer
      - .offset:         72
        .size:           8
        .value_kind:     by_value
      - .offset:         80
        .size:           4
        .value_kind:     by_value
      - .offset:         84
        .size:           4
        .value_kind:     by_value
      - .offset:         88
        .size:           8
        .value_kind:     by_value
      - .address_space:  global
        .offset:         96
        .size:           8
        .value_kind:     global_buffer
      - .address_space:  global
        .offset:         104
        .size:           8
        .value_kind:     global_buffer
      - .offset:         112
        .size:           8
        .value_kind:     by_value
      - .offset:         120
        .size:           4
        .value_kind:     by_value
      - .offset:         124
        .size:           4
        .value_kind:     by_value
      - .offset:         128
        .size:           8
        .value_kind:     by_value
      - .offset:         136
        .size:           4
        .value_kind:     hidden_block_count_x
      - .offset:         140
        .size:           4
        .value_kind:     hidden_block_count_y
      - .offset:         144
        .size:           4
        .value_kind:     hidden_block_count_z
      - .offset:         148
        .size:           2
        .value_kind:     hidden_group_size_x
      - .offset:         150
        .size:           2
        .value_kind:     hidden_group_size_y
      - .offset:         152
        .size:           2
        .value_kind:     hidden_group_size_z
      - .offset:         154
        .size:           2
        .value_kind:     hidden_remainder_x
      - .offset:         156
        .size:           2
        .value_kind:     hidden_remainder_y
      - .offset:         158
        .size:           2
        .value_kind:     hidden_remainder_z
      - .offset:         176
        .size:           8
        .value_kind:     hidden_global_offset_x
      - .offset:         184
        .size:           8
        .value_kind:     hidden_global_offset_y
      - .offset:         192
        .size:           8
        .value_kind:     hidden_global_offset_z
      - .offset:         200
        .size:           2
        .value_kind:     hidden_grid_dims
    .group_segment_fixed_size: 0
    .kernarg_segment_align: 8
    .kernarg_segment_size: 392
    .language:       OpenCL C
    .language_version:
      - 2
      - 0
    .max_flat_workgroup_size: 1024
    .name:           _ZN9rocsolver6v33100L16mfma_gemm_kernelIdiPKdPdS4_S4_EEv18rocblas_operation_S5_T0_S6_S6_T1_T2_lS6_S6_lT3_lS6_S6_lS7_T4_lS6_S6_l
    .private_segment_fixed_size: 0
    .sgpr_count:     44
    .sgpr_spill_count: 0
    .symbol:         _ZN9rocsolver6v33100L16mfma_gemm_kernelIdiPKdPdS4_S4_EEv18rocblas_operation_S5_T0_S6_S6_T1_T2_lS6_S6_lT3_lS6_S6_lS7_T4_lS6_S6_l.kd
    .uniform_work_group_size: 1
    .uses_dynamic_stack: false
    .vgpr_count:     34
    .vgpr_spill_count: 0
    .wavefront_size: 64
  - .agpr_count:     0
    .args:
      - .offset:         0
        .size:           4
        .value_kind:     by_value
      - .offset:         4
        .size:           4
        .value_kind:     by_value
      - .offset:         8
        .size:           4
        .value_kind:     by_value
      - .offset:         12
        .size:           4
        .value_kind:     by_value
      - .offset:         16
        .size:           4
        .value_kind:     by_value
      - .offset:         24
        .size:           8
        .value_kind:     by_value
      - .address_space:  global
        .offset:         32
        .size:           8
        .value_kind:     global_buffer
      - .offset:         40
        .size:           8
        .value_kind:     by_value
      - .offset:         48
        .size:           4
        .value_kind:     by_value
      - .offset:         52
        .size:           4
        .value_kind:     by_value
      - .offset:         56
        .size:           8
        .value_kind:     by_value
      - .address_space:  global
        .offset:         64
        .size:           8
        .value_kind:     global_buffer
      - .offset:         72
        .size:           8
        .value_kind:     by_value
      - .offset:         80
        .size:           4
        .value_kind:     by_value
      - .offset:         84
        .size:           4
        .value_kind:     by_value
      - .offset:         88
        .size:           8
        .value_kind:     by_value
      - .offset:         96
        .size:           8
        .value_kind:     by_value
      - .address_space:  global
        .offset:         104
        .size:           8
        .value_kind:     global_buffer
      - .offset:         112
        .size:           8
        .value_kind:     by_value
      - .offset:         120
        .size:           4
        .value_kind:     by_value
      - .offset:         124
        .size:           4
        .value_kind:     by_value
      - .offset:         128
        .size:           8
        .value_kind:     by_value
      - .offset:         136
        .size:           4
        .value_kind:     hidden_block_count_x
      - .offset:         140
        .size:           4
        .value_kind:     hidden_block_count_y
      - .offset:         144
        .size:           4
        .value_kind:     hidden_block_count_z
      - .offset:         148
        .size:           2
        .value_kind:     hidden_group_size_x
      - .offset:         150
        .size:           2
        .value_kind:     hidden_group_size_y
      - .offset:         152
        .size:           2
        .value_kind:     hidden_group_size_z
      - .offset:         154
        .size:           2
        .value_kind:     hidden_remainder_x
      - .offset:         156
        .size:           2
        .value_kind:     hidden_remainder_y
      - .offset:         158
        .size:           2
        .value_kind:     hidden_remainder_z
      - .offset:         176
        .size:           8
        .value_kind:     hidden_global_offset_x
      - .offset:         184
        .size:           8
        .value_kind:     hidden_global_offset_y
      - .offset:         192
        .size:           8
        .value_kind:     hidden_global_offset_z
      - .offset:         200
        .size:           2
        .value_kind:     hidden_grid_dims
    .group_segment_fixed_size: 0
    .kernarg_segment_align: 8
    .kernarg_segment_size: 392
    .language:       OpenCL C
    .language_version:
      - 2
      - 0
    .max_flat_workgroup_size: 1024
    .name:           _ZN9rocsolver6v33100L16mfma_gemm_kernelIdidPdS2_S2_EEv18rocblas_operation_S3_T0_S4_S4_T1_T2_lS4_S4_lT3_lS4_S4_lS5_T4_lS4_S4_l
    .private_segment_fixed_size: 0
    .sgpr_count:     44
    .sgpr_spill_count: 0
    .symbol:         _ZN9rocsolver6v33100L16mfma_gemm_kernelIdidPdS2_S2_EEv18rocblas_operation_S3_T0_S4_S4_T1_T2_lS4_S4_lT3_lS4_S4_lS5_T4_lS4_S4_l.kd
    .uniform_work_group_size: 1
    .uses_dynamic_stack: false
    .vgpr_count:     34
    .vgpr_spill_count: 0
    .wavefront_size: 64
  - .agpr_count:     0
    .args:
      - .offset:         0
        .size:           4
        .value_kind:     by_value
      - .offset:         4
        .size:           4
        .value_kind:     by_value
      - .offset:         8
        .size:           4
        .value_kind:     by_value
      - .address_space:  global
        .offset:         16
        .size:           8
        .value_kind:     global_buffer
      - .offset:         24
        .size:           1
        .value_kind:     by_value
      - .address_space:  global
        .offset:         32
        .size:           8
        .value_kind:     global_buffer
      - .offset:         40
        .size:           8
        .value_kind:     by_value
      - .offset:         48
        .size:           4
        .value_kind:     by_value
      - .offset:         52
        .size:           4
        .value_kind:     by_value
      - .offset:         56
        .size:           8
        .value_kind:     by_value
      - .offset:         64
        .size:           1
        .value_kind:     by_value
      - .address_space:  global
        .offset:         72
        .size:           8
        .value_kind:     global_buffer
      - .offset:         80
        .size:           8
        .value_kind:     by_value
      - .offset:         88
        .size:           4
        .value_kind:     by_value
      - .offset:         92
        .size:           4
        .value_kind:     by_value
      - .offset:         96
        .size:           8
        .value_kind:     by_value
      - .address_space:  global
        .offset:         104
        .size:           8
        .value_kind:     global_buffer
      - .address_space:  global
        .offset:         112
        .size:           8
        .value_kind:     global_buffer
      - .offset:         120
        .size:           8
        .value_kind:     by_value
      - .offset:         128
        .size:           4
        .value_kind:     by_value
      - .offset:         132
        .size:           4
        .value_kind:     by_value
      - .offset:         136
        .size:           8
        .value_kind:     by_value
      - .offset:         144
        .size:           4
        .value_kind:     hidden_block_count_x
      - .offset:         148
        .size:           4
        .value_kind:     hidden_block_count_y
      - .offset:         152
        .size:           4
        .value_kind:     hidden_block_count_z
      - .offset:         156
        .size:           2
        .value_kind:     hidden_group_size_x
      - .offset:         158
        .size:           2
        .value_kind:     hidden_group_size_y
      - .offset:         160
        .size:           2
        .value_kind:     hidden_group_size_z
      - .offset:         162
        .size:           2
        .value_kind:     hidden_remainder_x
      - .offset:         164
        .size:           2
        .value_kind:     hidden_remainder_y
      - .offset:         166
        .size:           2
        .value_kind:     hidden_remainder_z
      - .offset:         184
        .size:           8
        .value_kind:     hidden_global_offset_x
      - .offset:         192
        .size:           8
        .value_kind:     hidden_global_offset_y
      - .offset:         200
        .size:           8
        .value_kind:     hidden_global_offset_z
      - .offset:         208
        .size:           2
        .value_kind:     hidden_grid_dims
    .group_segment_fixed_size: 0
    .kernarg_segment_align: 8
    .kernarg_segment_size: 400
    .language:       OpenCL C
    .language_version:
      - 2
      - 0
    .max_flat_workgroup_size: 1024
    .name:           _ZN9rocsolver6v33100L11gemm_kernelIdiPKdPdS4_S4_EEvT0_S5_S5_T1_bT2_lS5_S5_lbT3_lS5_S5_lS6_T4_lS5_S5_l
    .private_segment_fixed_size: 0
    .sgpr_count:     36
    .sgpr_spill_count: 0
    .symbol:         _ZN9rocsolver6v33100L11gemm_kernelIdiPKdPdS4_S4_EEvT0_S5_S5_T1_bT2_lS5_S5_lbT3_lS5_S5_lS6_T4_lS5_S5_l.kd
    .uniform_work_group_size: 1
    .uses_dynamic_stack: false
    .vgpr_count:     14
    .vgpr_spill_count: 0
    .wavefront_size: 64
  - .agpr_count:     0
    .args:
      - .offset:         0
        .size:           4
        .value_kind:     by_value
      - .offset:         4
        .size:           4
        .value_kind:     by_value
      - .offset:         8
        .size:           4
        .value_kind:     by_value
      - .offset:         16
        .size:           8
        .value_kind:     by_value
      - .offset:         24
        .size:           1
        .value_kind:     by_value
      - .address_space:  global
        .offset:         32
        .size:           8
        .value_kind:     global_buffer
      - .offset:         40
        .size:           8
        .value_kind:     by_value
      - .offset:         48
        .size:           4
        .value_kind:     by_value
      - .offset:         52
        .size:           4
        .value_kind:     by_value
      - .offset:         56
        .size:           8
        .value_kind:     by_value
      - .offset:         64
        .size:           1
        .value_kind:     by_value
      - .address_space:  global
        .offset:         72
        .size:           8
        .value_kind:     global_buffer
      - .offset:         80
        .size:           8
        .value_kind:     by_value
      - .offset:         88
        .size:           4
        .value_kind:     by_value
      - .offset:         92
        .size:           4
        .value_kind:     by_value
      - .offset:         96
        .size:           8
        .value_kind:     by_value
      - .offset:         104
        .size:           8
        .value_kind:     by_value
      - .address_space:  global
        .offset:         112
        .size:           8
        .value_kind:     global_buffer
      - .offset:         120
        .size:           8
        .value_kind:     by_value
      - .offset:         128
        .size:           4
        .value_kind:     by_value
      - .offset:         132
        .size:           4
        .value_kind:     by_value
      - .offset:         136
        .size:           8
        .value_kind:     by_value
      - .offset:         144
        .size:           4
        .value_kind:     hidden_block_count_x
      - .offset:         148
        .size:           4
        .value_kind:     hidden_block_count_y
      - .offset:         152
        .size:           4
        .value_kind:     hidden_block_count_z
      - .offset:         156
        .size:           2
        .value_kind:     hidden_group_size_x
      - .offset:         158
        .size:           2
        .value_kind:     hidden_group_size_y
      - .offset:         160
        .size:           2
        .value_kind:     hidden_group_size_z
      - .offset:         162
        .size:           2
        .value_kind:     hidden_remainder_x
      - .offset:         164
        .size:           2
        .value_kind:     hidden_remainder_y
      - .offset:         166
        .size:           2
        .value_kind:     hidden_remainder_z
      - .offset:         184
        .size:           8
        .value_kind:     hidden_global_offset_x
      - .offset:         192
        .size:           8
        .value_kind:     hidden_global_offset_y
      - .offset:         200
        .size:           8
        .value_kind:     hidden_global_offset_z
      - .offset:         208
        .size:           2
        .value_kind:     hidden_grid_dims
    .group_segment_fixed_size: 0
    .kernarg_segment_align: 8
    .kernarg_segment_size: 400
    .language:       OpenCL C
    .language_version:
      - 2
      - 0
    .max_flat_workgroup_size: 1024
    .name:           _ZN9rocsolver6v33100L11gemm_kernelIdidPdS2_S2_EEvT0_S3_S3_T1_bT2_lS3_S3_lbT3_lS3_S3_lS4_T4_lS3_S3_l
    .private_segment_fixed_size: 0
    .sgpr_count:     36
    .sgpr_spill_count: 0
    .symbol:         _ZN9rocsolver6v33100L11gemm_kernelIdidPdS2_S2_EEvT0_S3_S3_T1_bT2_lS3_S3_lbT3_lS3_S3_lS4_T4_lS3_S3_l.kd
    .uniform_work_group_size: 1
    .uses_dynamic_stack: false
    .vgpr_count:     14
    .vgpr_spill_count: 0
    .wavefront_size: 64
  - .agpr_count:     0
    .args:
      - .offset:         0
        .size:           4
        .value_kind:     by_value
      - .offset:         4
        .size:           4
        .value_kind:     by_value
      - .offset:         8
        .size:           4
        .value_kind:     by_value
      - .offset:         12
        .size:           4
        .value_kind:     by_value
      - .offset:         16
        .size:           4
        .value_kind:     by_value
      - .address_space:  global
        .offset:         24
        .size:           8
        .value_kind:     global_buffer
      - .address_space:  global
        .offset:         32
        .size:           8
        .value_kind:     global_buffer
      - .offset:         40
        .size:           8
        .value_kind:     by_value
      - .offset:         48
        .size:           4
        .value_kind:     by_value
      - .offset:         52
        .size:           4
        .value_kind:     by_value
      - .offset:         56
        .size:           8
        .value_kind:     by_value
      - .address_space:  global
        .offset:         64
        .size:           8
        .value_kind:     global_buffer
      - .offset:         72
        .size:           8
        .value_kind:     by_value
      - .offset:         80
        .size:           4
        .value_kind:     by_value
      - .offset:         84
        .size:           4
        .value_kind:     by_value
      - .offset:         88
        .size:           8
        .value_kind:     by_value
      - .address_space:  global
        .offset:         96
        .size:           8
        .value_kind:     global_buffer
      - .address_space:  global
        .offset:         104
        .size:           8
        .value_kind:     global_buffer
      - .offset:         112
        .size:           8
        .value_kind:     by_value
      - .offset:         120
        .size:           4
        .value_kind:     by_value
      - .offset:         124
        .size:           4
        .value_kind:     by_value
      - .offset:         128
        .size:           8
        .value_kind:     by_value
      - .offset:         136
        .size:           4
        .value_kind:     hidden_block_count_x
      - .offset:         140
        .size:           4
        .value_kind:     hidden_block_count_y
      - .offset:         144
        .size:           4
        .value_kind:     hidden_block_count_z
      - .offset:         148
        .size:           2
        .value_kind:     hidden_group_size_x
      - .offset:         150
        .size:           2
        .value_kind:     hidden_group_size_y
      - .offset:         152
        .size:           2
        .value_kind:     hidden_group_size_z
      - .offset:         154
        .size:           2
        .value_kind:     hidden_remainder_x
      - .offset:         156
        .size:           2
        .value_kind:     hidden_remainder_y
      - .offset:         158
        .size:           2
        .value_kind:     hidden_remainder_z
      - .offset:         176
        .size:           8
        .value_kind:     hidden_global_offset_x
      - .offset:         184
        .size:           8
        .value_kind:     hidden_global_offset_y
      - .offset:         192
        .size:           8
        .value_kind:     hidden_global_offset_z
      - .offset:         200
        .size:           2
        .value_kind:     hidden_grid_dims
    .group_segment_fixed_size: 0
    .kernarg_segment_align: 8
    .kernarg_segment_size: 392
    .language:       OpenCL C
    .language_version:
      - 2
      - 0
    .max_flat_workgroup_size: 1024
    .name:           _ZN9rocsolver6v33100L16mfma_gemm_kernelIdiPKdPKPdS6_S6_EEv18rocblas_operation_S7_T0_S8_S8_T1_T2_lS8_S8_lT3_lS8_S8_lS9_T4_lS8_S8_l
    .private_segment_fixed_size: 0
    .sgpr_count:     40
    .sgpr_spill_count: 0
    .symbol:         _ZN9rocsolver6v33100L16mfma_gemm_kernelIdiPKdPKPdS6_S6_EEv18rocblas_operation_S7_T0_S8_S8_T1_T2_lS8_S8_lT3_lS8_S8_lS9_T4_lS8_S8_l.kd
    .uniform_work_group_size: 1
    .uses_dynamic_stack: false
    .vgpr_count:     34
    .vgpr_spill_count: 0
    .wavefront_size: 64
  - .agpr_count:     0
    .args:
      - .offset:         0
        .size:           4
        .value_kind:     by_value
      - .offset:         4
        .size:           4
        .value_kind:     by_value
      - .offset:         8
        .size:           4
        .value_kind:     by_value
      - .offset:         12
        .size:           4
        .value_kind:     by_value
      - .offset:         16
        .size:           4
        .value_kind:     by_value
      - .offset:         24
        .size:           8
        .value_kind:     by_value
      - .address_space:  global
        .offset:         32
        .size:           8
        .value_kind:     global_buffer
      - .offset:         40
        .size:           8
        .value_kind:     by_value
      - .offset:         48
        .size:           4
        .value_kind:     by_value
      - .offset:         52
        .size:           4
        .value_kind:     by_value
      - .offset:         56
        .size:           8
        .value_kind:     by_value
      - .address_space:  global
        .offset:         64
        .size:           8
        .value_kind:     global_buffer
      - .offset:         72
        .size:           8
        .value_kind:     by_value
      - .offset:         80
        .size:           4
        .value_kind:     by_value
      - .offset:         84
        .size:           4
        .value_kind:     by_value
      - .offset:         88
        .size:           8
        .value_kind:     by_value
      - .offset:         96
        .size:           8
        .value_kind:     by_value
      - .address_space:  global
        .offset:         104
        .size:           8
        .value_kind:     global_buffer
      - .offset:         112
        .size:           8
        .value_kind:     by_value
      - .offset:         120
        .size:           4
        .value_kind:     by_value
      - .offset:         124
        .size:           4
        .value_kind:     by_value
      - .offset:         128
        .size:           8
        .value_kind:     by_value
      - .offset:         136
        .size:           4
        .value_kind:     hidden_block_count_x
      - .offset:         140
        .size:           4
        .value_kind:     hidden_block_count_y
      - .offset:         144
        .size:           4
        .value_kind:     hidden_block_count_z
      - .offset:         148
        .size:           2
        .value_kind:     hidden_group_size_x
      - .offset:         150
        .size:           2
        .value_kind:     hidden_group_size_y
      - .offset:         152
        .size:           2
        .value_kind:     hidden_group_size_z
      - .offset:         154
        .size:           2
        .value_kind:     hidden_remainder_x
      - .offset:         156
        .size:           2
        .value_kind:     hidden_remainder_y
      - .offset:         158
        .size:           2
        .value_kind:     hidden_remainder_z
      - .offset:         176
        .size:           8
        .value_kind:     hidden_global_offset_x
      - .offset:         184
        .size:           8
        .value_kind:     hidden_global_offset_y
      - .offset:         192
        .size:           8
        .value_kind:     hidden_global_offset_z
      - .offset:         200
        .size:           2
        .value_kind:     hidden_grid_dims
    .group_segment_fixed_size: 0
    .kernarg_segment_align: 8
    .kernarg_segment_size: 392
    .language:       OpenCL C
    .language_version:
      - 2
      - 0
    .max_flat_workgroup_size: 1024
    .name:           _ZN9rocsolver6v33100L16mfma_gemm_kernelIdidPKPdS4_S4_EEv18rocblas_operation_S5_T0_S6_S6_T1_T2_lS6_S6_lT3_lS6_S6_lS7_T4_lS6_S6_l
    .private_segment_fixed_size: 0
    .sgpr_count:     40
    .sgpr_spill_count: 0
    .symbol:         _ZN9rocsolver6v33100L16mfma_gemm_kernelIdidPKPdS4_S4_EEv18rocblas_operation_S5_T0_S6_S6_T1_T2_lS6_S6_lT3_lS6_S6_lS7_T4_lS6_S6_l.kd
    .uniform_work_group_size: 1
    .uses_dynamic_stack: false
    .vgpr_count:     34
    .vgpr_spill_count: 0
    .wavefront_size: 64
  - .agpr_count:     0
    .args:
      - .offset:         0
        .size:           4
        .value_kind:     by_value
      - .offset:         4
        .size:           4
        .value_kind:     by_value
      - .offset:         8
        .size:           4
        .value_kind:     by_value
      - .address_space:  global
        .offset:         16
        .size:           8
        .value_kind:     global_buffer
      - .offset:         24
        .size:           1
        .value_kind:     by_value
      - .address_space:  global
        .offset:         32
        .size:           8
        .value_kind:     global_buffer
      - .offset:         40
        .size:           8
        .value_kind:     by_value
      - .offset:         48
        .size:           4
        .value_kind:     by_value
      - .offset:         52
        .size:           4
        .value_kind:     by_value
      - .offset:         56
        .size:           8
        .value_kind:     by_value
      - .offset:         64
        .size:           1
        .value_kind:     by_value
      - .address_space:  global
        .offset:         72
        .size:           8
        .value_kind:     global_buffer
      - .offset:         80
        .size:           8
        .value_kind:     by_value
      - .offset:         88
        .size:           4
        .value_kind:     by_value
      - .offset:         92
        .size:           4
        .value_kind:     by_value
      - .offset:         96
        .size:           8
        .value_kind:     by_value
      - .address_space:  global
        .offset:         104
        .size:           8
        .value_kind:     global_buffer
      - .address_space:  global
        .offset:         112
        .size:           8
        .value_kind:     global_buffer
      - .offset:         120
        .size:           8
        .value_kind:     by_value
      - .offset:         128
        .size:           4
        .value_kind:     by_value
      - .offset:         132
        .size:           4
        .value_kind:     by_value
      - .offset:         136
        .size:           8
        .value_kind:     by_value
      - .offset:         144
        .size:           4
        .value_kind:     hidden_block_count_x
      - .offset:         148
        .size:           4
        .value_kind:     hidden_block_count_y
      - .offset:         152
        .size:           4
        .value_kind:     hidden_block_count_z
      - .offset:         156
        .size:           2
        .value_kind:     hidden_group_size_x
      - .offset:         158
        .size:           2
        .value_kind:     hidden_group_size_y
      - .offset:         160
        .size:           2
        .value_kind:     hidden_group_size_z
      - .offset:         162
        .size:           2
        .value_kind:     hidden_remainder_x
      - .offset:         164
        .size:           2
        .value_kind:     hidden_remainder_y
      - .offset:         166
        .size:           2
        .value_kind:     hidden_remainder_z
      - .offset:         184
        .size:           8
        .value_kind:     hidden_global_offset_x
      - .offset:         192
        .size:           8
        .value_kind:     hidden_global_offset_y
      - .offset:         200
        .size:           8
        .value_kind:     hidden_global_offset_z
      - .offset:         208
        .size:           2
        .value_kind:     hidden_grid_dims
    .group_segment_fixed_size: 0
    .kernarg_segment_align: 8
    .kernarg_segment_size: 400
    .language:       OpenCL C
    .language_version:
      - 2
      - 0
    .max_flat_workgroup_size: 1024
    .name:           _ZN9rocsolver6v33100L11gemm_kernelIdiPKdPKPdS6_S6_EEvT0_S7_S7_T1_bT2_lS7_S7_lbT3_lS7_S7_lS8_T4_lS7_S7_l
    .private_segment_fixed_size: 0
    .sgpr_count:     30
    .sgpr_spill_count: 0
    .symbol:         _ZN9rocsolver6v33100L11gemm_kernelIdiPKdPKPdS6_S6_EEvT0_S7_S7_T1_bT2_lS7_S7_lbT3_lS7_S7_lS8_T4_lS7_S7_l.kd
    .uniform_work_group_size: 1
    .uses_dynamic_stack: false
    .vgpr_count:     14
    .vgpr_spill_count: 0
    .wavefront_size: 64
  - .agpr_count:     0
    .args:
      - .offset:         0
        .size:           4
        .value_kind:     by_value
      - .offset:         4
        .size:           4
        .value_kind:     by_value
      - .offset:         8
        .size:           4
        .value_kind:     by_value
      - .offset:         16
        .size:           8
        .value_kind:     by_value
      - .offset:         24
        .size:           1
        .value_kind:     by_value
      - .address_space:  global
        .offset:         32
        .size:           8
        .value_kind:     global_buffer
      - .offset:         40
        .size:           8
        .value_kind:     by_value
      - .offset:         48
        .size:           4
        .value_kind:     by_value
      - .offset:         52
        .size:           4
        .value_kind:     by_value
      - .offset:         56
        .size:           8
        .value_kind:     by_value
      - .offset:         64
        .size:           1
        .value_kind:     by_value
      - .address_space:  global
        .offset:         72
        .size:           8
        .value_kind:     global_buffer
      - .offset:         80
        .size:           8
        .value_kind:     by_value
      - .offset:         88
        .size:           4
        .value_kind:     by_value
      - .offset:         92
        .size:           4
        .value_kind:     by_value
      - .offset:         96
        .size:           8
        .value_kind:     by_value
      - .offset:         104
        .size:           8
        .value_kind:     by_value
      - .address_space:  global
        .offset:         112
        .size:           8
        .value_kind:     global_buffer
      - .offset:         120
        .size:           8
        .value_kind:     by_value
      - .offset:         128
        .size:           4
        .value_kind:     by_value
      - .offset:         132
        .size:           4
        .value_kind:     by_value
      - .offset:         136
        .size:           8
        .value_kind:     by_value
      - .offset:         144
        .size:           4
        .value_kind:     hidden_block_count_x
      - .offset:         148
        .size:           4
        .value_kind:     hidden_block_count_y
      - .offset:         152
        .size:           4
        .value_kind:     hidden_block_count_z
      - .offset:         156
        .size:           2
        .value_kind:     hidden_group_size_x
      - .offset:         158
        .size:           2
        .value_kind:     hidden_group_size_y
      - .offset:         160
        .size:           2
        .value_kind:     hidden_group_size_z
      - .offset:         162
        .size:           2
        .value_kind:     hidden_remainder_x
      - .offset:         164
        .size:           2
        .value_kind:     hidden_remainder_y
      - .offset:         166
        .size:           2
        .value_kind:     hidden_remainder_z
      - .offset:         184
        .size:           8
        .value_kind:     hidden_global_offset_x
      - .offset:         192
        .size:           8
        .value_kind:     hidden_global_offset_y
      - .offset:         200
        .size:           8
        .value_kind:     hidden_global_offset_z
      - .offset:         208
        .size:           2
        .value_kind:     hidden_grid_dims
    .group_segment_fixed_size: 0
    .kernarg_segment_align: 8
    .kernarg_segment_size: 400
    .language:       OpenCL C
    .language_version:
      - 2
      - 0
    .max_flat_workgroup_size: 1024
    .name:           _ZN9rocsolver6v33100L11gemm_kernelIdidPKPdS4_S4_EEvT0_S5_S5_T1_bT2_lS5_S5_lbT3_lS5_S5_lS6_T4_lS5_S5_l
    .private_segment_fixed_size: 0
    .sgpr_count:     28
    .sgpr_spill_count: 0
    .symbol:         _ZN9rocsolver6v33100L11gemm_kernelIdidPKPdS4_S4_EEvT0_S5_S5_T1_bT2_lS5_S5_lbT3_lS5_S5_lS6_T4_lS5_S5_l.kd
    .uniform_work_group_size: 1
    .uses_dynamic_stack: false
    .vgpr_count:     14
    .vgpr_spill_count: 0
    .wavefront_size: 64
  - .agpr_count:     0
    .args:
      - .address_space:  global
        .offset:         0
        .size:           8
        .value_kind:     global_buffer
      - .address_space:  global
        .offset:         8
        .size:           8
        .value_kind:     global_buffer
      - .offset:         16
        .size:           8
        .value_kind:     by_value
      - .offset:         24
        .size:           4
        .value_kind:     by_value
      - .offset:         32
        .size:           4
        .value_kind:     hidden_block_count_x
      - .offset:         36
        .size:           4
        .value_kind:     hidden_block_count_y
      - .offset:         40
        .size:           4
        .value_kind:     hidden_block_count_z
      - .offset:         44
        .size:           2
        .value_kind:     hidden_group_size_x
      - .offset:         46
        .size:           2
        .value_kind:     hidden_group_size_y
      - .offset:         48
        .size:           2
        .value_kind:     hidden_group_size_z
      - .offset:         50
        .size:           2
        .value_kind:     hidden_remainder_x
      - .offset:         52
        .size:           2
        .value_kind:     hidden_remainder_y
      - .offset:         54
        .size:           2
        .value_kind:     hidden_remainder_z
      - .offset:         72
        .size:           8
        .value_kind:     hidden_global_offset_x
      - .offset:         80
        .size:           8
        .value_kind:     hidden_global_offset_y
      - .offset:         88
        .size:           8
        .value_kind:     hidden_global_offset_z
      - .offset:         96
        .size:           2
        .value_kind:     hidden_grid_dims
    .group_segment_fixed_size: 0
    .kernarg_segment_align: 8
    .kernarg_segment_size: 288
    .language:       OpenCL C
    .language_version:
      - 2
      - 0
    .max_flat_workgroup_size: 1024
    .name:           _ZN9rocsolver6v33100L9get_arrayIdiEEvPPT_S3_lT0_
    .private_segment_fixed_size: 0
    .sgpr_count:     12
    .sgpr_spill_count: 0
    .symbol:         _ZN9rocsolver6v33100L9get_arrayIdiEEvPPT_S3_lT0_.kd
    .uniform_work_group_size: 1
    .uses_dynamic_stack: false
    .vgpr_count:     6
    .vgpr_spill_count: 0
    .wavefront_size: 64
  - .agpr_count:     0
    .args:
      - .offset:         0
        .size:           4
        .value_kind:     by_value
      - .offset:         4
        .size:           4
        .value_kind:     by_value
      - .offset:         8
        .size:           4
        .value_kind:     by_value
      - .offset:         12
        .size:           4
        .value_kind:     by_value
      - .offset:         16
        .size:           4
        .value_kind:     by_value
      - .address_space:  global
        .offset:         24
        .size:           8
        .value_kind:     global_buffer
      - .address_space:  global
        .offset:         32
        .size:           8
        .value_kind:     global_buffer
      - .offset:         40
        .size:           8
        .value_kind:     by_value
      - .offset:         48
        .size:           4
        .value_kind:     by_value
      - .offset:         52
        .size:           4
        .value_kind:     by_value
      - .offset:         56
        .size:           8
        .value_kind:     by_value
      - .address_space:  global
        .offset:         64
        .size:           8
        .value_kind:     global_buffer
      - .offset:         72
        .size:           8
        .value_kind:     by_value
      - .offset:         80
        .size:           4
        .value_kind:     by_value
      - .offset:         84
        .size:           4
        .value_kind:     by_value
      - .offset:         88
        .size:           8
        .value_kind:     by_value
      - .address_space:  global
        .offset:         96
        .size:           8
        .value_kind:     global_buffer
      - .address_space:  global
        .offset:         104
        .size:           8
        .value_kind:     global_buffer
      - .offset:         112
        .size:           8
        .value_kind:     by_value
      - .offset:         120
        .size:           4
        .value_kind:     by_value
      - .offset:         124
        .size:           4
        .value_kind:     by_value
      - .offset:         128
        .size:           8
        .value_kind:     by_value
      - .offset:         136
        .size:           4
        .value_kind:     hidden_block_count_x
      - .offset:         140
        .size:           4
        .value_kind:     hidden_block_count_y
      - .offset:         144
        .size:           4
        .value_kind:     hidden_block_count_z
      - .offset:         148
        .size:           2
        .value_kind:     hidden_group_size_x
      - .offset:         150
        .size:           2
        .value_kind:     hidden_group_size_y
      - .offset:         152
        .size:           2
        .value_kind:     hidden_group_size_z
      - .offset:         154
        .size:           2
        .value_kind:     hidden_remainder_x
      - .offset:         156
        .size:           2
        .value_kind:     hidden_remainder_y
      - .offset:         158
        .size:           2
        .value_kind:     hidden_remainder_z
      - .offset:         176
        .size:           8
        .value_kind:     hidden_global_offset_x
      - .offset:         184
        .size:           8
        .value_kind:     hidden_global_offset_y
      - .offset:         192
        .size:           8
        .value_kind:     hidden_global_offset_z
      - .offset:         200
        .size:           2
        .value_kind:     hidden_grid_dims
    .group_segment_fixed_size: 0
    .kernarg_segment_align: 8
    .kernarg_segment_size: 392
    .language:       OpenCL C
    .language_version:
      - 2
      - 0
    .max_flat_workgroup_size: 1024
    .name:           _ZN9rocsolver6v33100L16mfma_gemm_kernelIdiPKdPdPKS4_S6_EEv18rocblas_operation_S7_T0_S8_S8_T1_T2_lS8_S8_lT3_lS8_S8_lS9_T4_lS8_S8_l
    .private_segment_fixed_size: 0
    .sgpr_count:     39
    .sgpr_spill_count: 0
    .symbol:         _ZN9rocsolver6v33100L16mfma_gemm_kernelIdiPKdPdPKS4_S6_EEv18rocblas_operation_S7_T0_S8_S8_T1_T2_lS8_S8_lT3_lS8_S8_lS9_T4_lS8_S8_l.kd
    .uniform_work_group_size: 1
    .uses_dynamic_stack: false
    .vgpr_count:     34
    .vgpr_spill_count: 0
    .wavefront_size: 64
  - .agpr_count:     0
    .args:
      - .offset:         0
        .size:           4
        .value_kind:     by_value
      - .offset:         4
        .size:           4
        .value_kind:     by_value
      - .offset:         8
        .size:           4
        .value_kind:     by_value
      - .offset:         12
        .size:           4
        .value_kind:     by_value
      - .offset:         16
        .size:           4
        .value_kind:     by_value
      - .offset:         24
        .size:           8
        .value_kind:     by_value
      - .address_space:  global
        .offset:         32
        .size:           8
        .value_kind:     global_buffer
      - .offset:         40
        .size:           8
        .value_kind:     by_value
      - .offset:         48
        .size:           4
        .value_kind:     by_value
      - .offset:         52
        .size:           4
        .value_kind:     by_value
      - .offset:         56
        .size:           8
        .value_kind:     by_value
      - .address_space:  global
        .offset:         64
        .size:           8
        .value_kind:     global_buffer
      - .offset:         72
        .size:           8
        .value_kind:     by_value
      - .offset:         80
        .size:           4
        .value_kind:     by_value
      - .offset:         84
        .size:           4
        .value_kind:     by_value
      - .offset:         88
        .size:           8
        .value_kind:     by_value
      - .offset:         96
        .size:           8
        .value_kind:     by_value
      - .address_space:  global
        .offset:         104
        .size:           8
        .value_kind:     global_buffer
      - .offset:         112
        .size:           8
        .value_kind:     by_value
      - .offset:         120
        .size:           4
        .value_kind:     by_value
      - .offset:         124
        .size:           4
        .value_kind:     by_value
      - .offset:         128
        .size:           8
        .value_kind:     by_value
      - .offset:         136
        .size:           4
        .value_kind:     hidden_block_count_x
      - .offset:         140
        .size:           4
        .value_kind:     hidden_block_count_y
      - .offset:         144
        .size:           4
        .value_kind:     hidden_block_count_z
      - .offset:         148
        .size:           2
        .value_kind:     hidden_group_size_x
      - .offset:         150
        .size:           2
        .value_kind:     hidden_group_size_y
      - .offset:         152
        .size:           2
        .value_kind:     hidden_group_size_z
      - .offset:         154
        .size:           2
        .value_kind:     hidden_remainder_x
      - .offset:         156
        .size:           2
        .value_kind:     hidden_remainder_y
      - .offset:         158
        .size:           2
        .value_kind:     hidden_remainder_z
      - .offset:         176
        .size:           8
        .value_kind:     hidden_global_offset_x
      - .offset:         184
        .size:           8
        .value_kind:     hidden_global_offset_y
      - .offset:         192
        .size:           8
        .value_kind:     hidden_global_offset_z
      - .offset:         200
        .size:           2
        .value_kind:     hidden_grid_dims
    .group_segment_fixed_size: 0
    .kernarg_segment_align: 8
    .kernarg_segment_size: 392
    .language:       OpenCL C
    .language_version:
      - 2
      - 0
    .max_flat_workgroup_size: 1024
    .name:           _ZN9rocsolver6v33100L16mfma_gemm_kernelIdidPdPKS2_S4_EEv18rocblas_operation_S5_T0_S6_S6_T1_T2_lS6_S6_lT3_lS6_S6_lS7_T4_lS6_S6_l
    .private_segment_fixed_size: 0
    .sgpr_count:     38
    .sgpr_spill_count: 0
    .symbol:         _ZN9rocsolver6v33100L16mfma_gemm_kernelIdidPdPKS2_S4_EEv18rocblas_operation_S5_T0_S6_S6_T1_T2_lS6_S6_lT3_lS6_S6_lS7_T4_lS6_S6_l.kd
    .uniform_work_group_size: 1
    .uses_dynamic_stack: false
    .vgpr_count:     34
    .vgpr_spill_count: 0
    .wavefront_size: 64
  - .agpr_count:     0
    .args:
      - .offset:         0
        .size:           4
        .value_kind:     by_value
      - .offset:         4
        .size:           4
        .value_kind:     by_value
      - .offset:         8
        .size:           4
        .value_kind:     by_value
      - .address_space:  global
        .offset:         16
        .size:           8
        .value_kind:     global_buffer
      - .offset:         24
        .size:           1
        .value_kind:     by_value
      - .address_space:  global
        .offset:         32
        .size:           8
        .value_kind:     global_buffer
      - .offset:         40
        .size:           8
        .value_kind:     by_value
      - .offset:         48
        .size:           4
        .value_kind:     by_value
      - .offset:         52
        .size:           4
        .value_kind:     by_value
      - .offset:         56
        .size:           8
        .value_kind:     by_value
      - .offset:         64
        .size:           1
        .value_kind:     by_value
      - .address_space:  global
        .offset:         72
        .size:           8
        .value_kind:     global_buffer
      - .offset:         80
        .size:           8
        .value_kind:     by_value
      - .offset:         88
        .size:           4
        .value_kind:     by_value
      - .offset:         92
        .size:           4
        .value_kind:     by_value
      - .offset:         96
        .size:           8
        .value_kind:     by_value
      - .address_space:  global
        .offset:         104
        .size:           8
        .value_kind:     global_buffer
      - .address_space:  global
        .offset:         112
        .size:           8
        .value_kind:     global_buffer
      - .offset:         120
        .size:           8
        .value_kind:     by_value
      - .offset:         128
        .size:           4
        .value_kind:     by_value
      - .offset:         132
        .size:           4
        .value_kind:     by_value
      - .offset:         136
        .size:           8
        .value_kind:     by_value
      - .offset:         144
        .size:           4
        .value_kind:     hidden_block_count_x
      - .offset:         148
        .size:           4
        .value_kind:     hidden_block_count_y
      - .offset:         152
        .size:           4
        .value_kind:     hidden_block_count_z
      - .offset:         156
        .size:           2
        .value_kind:     hidden_group_size_x
      - .offset:         158
        .size:           2
        .value_kind:     hidden_group_size_y
      - .offset:         160
        .size:           2
        .value_kind:     hidden_group_size_z
      - .offset:         162
        .size:           2
        .value_kind:     hidden_remainder_x
      - .offset:         164
        .size:           2
        .value_kind:     hidden_remainder_y
      - .offset:         166
        .size:           2
        .value_kind:     hidden_remainder_z
      - .offset:         184
        .size:           8
        .value_kind:     hidden_global_offset_x
      - .offset:         192
        .size:           8
        .value_kind:     hidden_global_offset_y
      - .offset:         200
        .size:           8
        .value_kind:     hidden_global_offset_z
      - .offset:         208
        .size:           2
        .value_kind:     hidden_grid_dims
    .group_segment_fixed_size: 0
    .kernarg_segment_align: 8
    .kernarg_segment_size: 400
    .language:       OpenCL C
    .language_version:
      - 2
      - 0
    .max_flat_workgroup_size: 1024
    .name:           _ZN9rocsolver6v33100L11gemm_kernelIdiPKdPdPKS4_S6_EEvT0_S7_S7_T1_bT2_lS7_S7_lbT3_lS7_S7_lS8_T4_lS7_S7_l
    .private_segment_fixed_size: 0
    .sgpr_count:     36
    .sgpr_spill_count: 0
    .symbol:         _ZN9rocsolver6v33100L11gemm_kernelIdiPKdPdPKS4_S6_EEvT0_S7_S7_T1_bT2_lS7_S7_lbT3_lS7_S7_lS8_T4_lS7_S7_l.kd
    .uniform_work_group_size: 1
    .uses_dynamic_stack: false
    .vgpr_count:     14
    .vgpr_spill_count: 0
    .wavefront_size: 64
  - .agpr_count:     0
    .args:
      - .offset:         0
        .size:           4
        .value_kind:     by_value
      - .offset:         4
        .size:           4
        .value_kind:     by_value
      - .offset:         8
        .size:           4
        .value_kind:     by_value
      - .offset:         16
        .size:           8
        .value_kind:     by_value
      - .offset:         24
        .size:           1
        .value_kind:     by_value
      - .address_space:  global
        .offset:         32
        .size:           8
        .value_kind:     global_buffer
      - .offset:         40
        .size:           8
        .value_kind:     by_value
      - .offset:         48
        .size:           4
        .value_kind:     by_value
      - .offset:         52
        .size:           4
        .value_kind:     by_value
      - .offset:         56
        .size:           8
        .value_kind:     by_value
      - .offset:         64
        .size:           1
        .value_kind:     by_value
      - .address_space:  global
        .offset:         72
        .size:           8
        .value_kind:     global_buffer
      - .offset:         80
        .size:           8
        .value_kind:     by_value
      - .offset:         88
        .size:           4
        .value_kind:     by_value
      - .offset:         92
        .size:           4
        .value_kind:     by_value
      - .offset:         96
        .size:           8
        .value_kind:     by_value
      - .offset:         104
        .size:           8
        .value_kind:     by_value
      - .address_space:  global
        .offset:         112
        .size:           8
        .value_kind:     global_buffer
      - .offset:         120
        .size:           8
        .value_kind:     by_value
      - .offset:         128
        .size:           4
        .value_kind:     by_value
      - .offset:         132
        .size:           4
        .value_kind:     by_value
      - .offset:         136
        .size:           8
        .value_kind:     by_value
      - .offset:         144
        .size:           4
        .value_kind:     hidden_block_count_x
      - .offset:         148
        .size:           4
        .value_kind:     hidden_block_count_y
      - .offset:         152
        .size:           4
        .value_kind:     hidden_block_count_z
      - .offset:         156
        .size:           2
        .value_kind:     hidden_group_size_x
      - .offset:         158
        .size:           2
        .value_kind:     hidden_group_size_y
      - .offset:         160
        .size:           2
        .value_kind:     hidden_group_size_z
      - .offset:         162
        .size:           2
        .value_kind:     hidden_remainder_x
      - .offset:         164
        .size:           2
        .value_kind:     hidden_remainder_y
      - .offset:         166
        .size:           2
        .value_kind:     hidden_remainder_z
      - .offset:         184
        .size:           8
        .value_kind:     hidden_global_offset_x
      - .offset:         192
        .size:           8
        .value_kind:     hidden_global_offset_y
      - .offset:         200
        .size:           8
        .value_kind:     hidden_global_offset_z
      - .offset:         208
        .size:           2
        .value_kind:     hidden_grid_dims
    .group_segment_fixed_size: 0
    .kernarg_segment_align: 8
    .kernarg_segment_size: 400
    .language:       OpenCL C
    .language_version:
      - 2
      - 0
    .max_flat_workgroup_size: 1024
    .name:           _ZN9rocsolver6v33100L11gemm_kernelIdidPdPKS2_S4_EEvT0_S5_S5_T1_bT2_lS5_S5_lbT3_lS5_S5_lS6_T4_lS5_S5_l
    .private_segment_fixed_size: 0
    .sgpr_count:     32
    .sgpr_spill_count: 0
    .symbol:         _ZN9rocsolver6v33100L11gemm_kernelIdidPdPKS2_S4_EEvT0_S5_S5_T1_bT2_lS5_S5_lbT3_lS5_S5_lS6_T4_lS5_S5_l.kd
    .uniform_work_group_size: 1
    .uses_dynamic_stack: false
    .vgpr_count:     14
    .vgpr_spill_count: 0
    .wavefront_size: 64
  - .agpr_count:     0
    .args:
      - .offset:         0
        .size:           4
        .value_kind:     by_value
      - .offset:         4
        .size:           4
        .value_kind:     by_value
      - .offset:         8
        .size:           4
        .value_kind:     by_value
      - .offset:         12
        .size:           4
        .value_kind:     by_value
      - .offset:         16
        .size:           4
        .value_kind:     by_value
      - .address_space:  global
        .offset:         24
        .size:           8
        .value_kind:     global_buffer
      - .address_space:  global
        .offset:         32
        .size:           8
        .value_kind:     global_buffer
      - .offset:         40
        .size:           8
        .value_kind:     by_value
      - .offset:         48
        .size:           4
        .value_kind:     by_value
      - .offset:         52
        .size:           4
        .value_kind:     by_value
      - .offset:         56
        .size:           8
        .value_kind:     by_value
      - .address_space:  global
        .offset:         64
        .size:           8
        .value_kind:     global_buffer
      - .offset:         72
        .size:           8
        .value_kind:     by_value
      - .offset:         80
        .size:           4
        .value_kind:     by_value
      - .offset:         84
        .size:           4
        .value_kind:     by_value
      - .offset:         88
        .size:           8
        .value_kind:     by_value
      - .address_space:  global
        .offset:         96
        .size:           8
        .value_kind:     global_buffer
      - .address_space:  global
        .offset:         104
        .size:           8
        .value_kind:     global_buffer
      - .offset:         112
        .size:           8
        .value_kind:     by_value
      - .offset:         120
        .size:           4
        .value_kind:     by_value
      - .offset:         124
        .size:           4
        .value_kind:     by_value
      - .offset:         128
        .size:           8
        .value_kind:     by_value
      - .offset:         136
        .size:           4
        .value_kind:     hidden_block_count_x
      - .offset:         140
        .size:           4
        .value_kind:     hidden_block_count_y
      - .offset:         144
        .size:           4
        .value_kind:     hidden_block_count_z
      - .offset:         148
        .size:           2
        .value_kind:     hidden_group_size_x
      - .offset:         150
        .size:           2
        .value_kind:     hidden_group_size_y
      - .offset:         152
        .size:           2
        .value_kind:     hidden_group_size_z
      - .offset:         154
        .size:           2
        .value_kind:     hidden_remainder_x
      - .offset:         156
        .size:           2
        .value_kind:     hidden_remainder_y
      - .offset:         158
        .size:           2
        .value_kind:     hidden_remainder_z
      - .offset:         176
        .size:           8
        .value_kind:     hidden_global_offset_x
      - .offset:         184
        .size:           8
        .value_kind:     hidden_global_offset_y
      - .offset:         192
        .size:           8
        .value_kind:     hidden_global_offset_z
      - .offset:         200
        .size:           2
        .value_kind:     hidden_grid_dims
    .group_segment_fixed_size: 0
    .kernarg_segment_align: 8
    .kernarg_segment_size: 392
    .language:       OpenCL C
    .language_version:
      - 2
      - 0
    .max_flat_workgroup_size: 1024
    .name:           _ZN9rocsolver6v33100L16mfma_gemm_kernelIdiPKdPKPdS4_S6_EEv18rocblas_operation_S7_T0_S8_S8_T1_T2_lS8_S8_lT3_lS8_S8_lS9_T4_lS8_S8_l
    .private_segment_fixed_size: 0
    .sgpr_count:     44
    .sgpr_spill_count: 0
    .symbol:         _ZN9rocsolver6v33100L16mfma_gemm_kernelIdiPKdPKPdS4_S6_EEv18rocblas_operation_S7_T0_S8_S8_T1_T2_lS8_S8_lT3_lS8_S8_lS9_T4_lS8_S8_l.kd
    .uniform_work_group_size: 1
    .uses_dynamic_stack: false
    .vgpr_count:     34
    .vgpr_spill_count: 0
    .wavefront_size: 64
  - .agpr_count:     0
    .args:
      - .offset:         0
        .size:           4
        .value_kind:     by_value
      - .offset:         4
        .size:           4
        .value_kind:     by_value
      - .offset:         8
        .size:           4
        .value_kind:     by_value
      - .offset:         12
        .size:           4
        .value_kind:     by_value
      - .offset:         16
        .size:           4
        .value_kind:     by_value
      - .offset:         24
        .size:           8
        .value_kind:     by_value
      - .address_space:  global
        .offset:         32
        .size:           8
        .value_kind:     global_buffer
      - .offset:         40
        .size:           8
        .value_kind:     by_value
      - .offset:         48
        .size:           4
        .value_kind:     by_value
      - .offset:         52
        .size:           4
        .value_kind:     by_value
      - .offset:         56
        .size:           8
        .value_kind:     by_value
      - .address_space:  global
        .offset:         64
        .size:           8
        .value_kind:     global_buffer
      - .offset:         72
        .size:           8
        .value_kind:     by_value
      - .offset:         80
        .size:           4
        .value_kind:     by_value
      - .offset:         84
        .size:           4
        .value_kind:     by_value
      - .offset:         88
        .size:           8
        .value_kind:     by_value
      - .offset:         96
        .size:           8
        .value_kind:     by_value
      - .address_space:  global
        .offset:         104
        .size:           8
        .value_kind:     global_buffer
      - .offset:         112
        .size:           8
        .value_kind:     by_value
      - .offset:         120
        .size:           4
        .value_kind:     by_value
      - .offset:         124
        .size:           4
        .value_kind:     by_value
      - .offset:         128
        .size:           8
        .value_kind:     by_value
      - .offset:         136
        .size:           4
        .value_kind:     hidden_block_count_x
      - .offset:         140
        .size:           4
        .value_kind:     hidden_block_count_y
      - .offset:         144
        .size:           4
        .value_kind:     hidden_block_count_z
      - .offset:         148
        .size:           2
        .value_kind:     hidden_group_size_x
      - .offset:         150
        .size:           2
        .value_kind:     hidden_group_size_y
      - .offset:         152
        .size:           2
        .value_kind:     hidden_group_size_z
      - .offset:         154
        .size:           2
        .value_kind:     hidden_remainder_x
      - .offset:         156
        .size:           2
        .value_kind:     hidden_remainder_y
      - .offset:         158
        .size:           2
        .value_kind:     hidden_remainder_z
      - .offset:         176
        .size:           8
        .value_kind:     hidden_global_offset_x
      - .offset:         184
        .size:           8
        .value_kind:     hidden_global_offset_y
      - .offset:         192
        .size:           8
        .value_kind:     hidden_global_offset_z
      - .offset:         200
        .size:           2
        .value_kind:     hidden_grid_dims
    .group_segment_fixed_size: 0
    .kernarg_segment_align: 8
    .kernarg_segment_size: 392
    .language:       OpenCL C
    .language_version:
      - 2
      - 0
    .max_flat_workgroup_size: 1024
    .name:           _ZN9rocsolver6v33100L16mfma_gemm_kernelIdidPKPdS2_S4_EEv18rocblas_operation_S5_T0_S6_S6_T1_T2_lS6_S6_lT3_lS6_S6_lS7_T4_lS6_S6_l
    .private_segment_fixed_size: 0
    .sgpr_count:     44
    .sgpr_spill_count: 0
    .symbol:         _ZN9rocsolver6v33100L16mfma_gemm_kernelIdidPKPdS2_S4_EEv18rocblas_operation_S5_T0_S6_S6_T1_T2_lS6_S6_lT3_lS6_S6_lS7_T4_lS6_S6_l.kd
    .uniform_work_group_size: 1
    .uses_dynamic_stack: false
    .vgpr_count:     34
    .vgpr_spill_count: 0
    .wavefront_size: 64
  - .agpr_count:     0
    .args:
      - .offset:         0
        .size:           4
        .value_kind:     by_value
      - .offset:         4
        .size:           4
        .value_kind:     by_value
      - .offset:         8
        .size:           4
        .value_kind:     by_value
      - .address_space:  global
        .offset:         16
        .size:           8
        .value_kind:     global_buffer
      - .offset:         24
        .size:           1
        .value_kind:     by_value
      - .address_space:  global
        .offset:         32
        .size:           8
        .value_kind:     global_buffer
      - .offset:         40
        .size:           8
        .value_kind:     by_value
      - .offset:         48
        .size:           4
        .value_kind:     by_value
      - .offset:         52
        .size:           4
        .value_kind:     by_value
      - .offset:         56
        .size:           8
        .value_kind:     by_value
      - .offset:         64
        .size:           1
        .value_kind:     by_value
      - .address_space:  global
        .offset:         72
        .size:           8
        .value_kind:     global_buffer
      - .offset:         80
        .size:           8
        .value_kind:     by_value
      - .offset:         88
        .size:           4
        .value_kind:     by_value
      - .offset:         92
        .size:           4
        .value_kind:     by_value
      - .offset:         96
        .size:           8
        .value_kind:     by_value
      - .address_space:  global
        .offset:         104
        .size:           8
        .value_kind:     global_buffer
      - .address_space:  global
        .offset:         112
        .size:           8
        .value_kind:     global_buffer
      - .offset:         120
        .size:           8
        .value_kind:     by_value
      - .offset:         128
        .size:           4
        .value_kind:     by_value
      - .offset:         132
        .size:           4
        .value_kind:     by_value
      - .offset:         136
        .size:           8
        .value_kind:     by_value
      - .offset:         144
        .size:           4
        .value_kind:     hidden_block_count_x
      - .offset:         148
        .size:           4
        .value_kind:     hidden_block_count_y
      - .offset:         152
        .size:           4
        .value_kind:     hidden_block_count_z
      - .offset:         156
        .size:           2
        .value_kind:     hidden_group_size_x
      - .offset:         158
        .size:           2
        .value_kind:     hidden_group_size_y
      - .offset:         160
        .size:           2
        .value_kind:     hidden_group_size_z
      - .offset:         162
        .size:           2
        .value_kind:     hidden_remainder_x
      - .offset:         164
        .size:           2
        .value_kind:     hidden_remainder_y
      - .offset:         166
        .size:           2
        .value_kind:     hidden_remainder_z
      - .offset:         184
        .size:           8
        .value_kind:     hidden_global_offset_x
      - .offset:         192
        .size:           8
        .value_kind:     hidden_global_offset_y
      - .offset:         200
        .size:           8
        .value_kind:     hidden_global_offset_z
      - .offset:         208
        .size:           2
        .value_kind:     hidden_grid_dims
    .group_segment_fixed_size: 0
    .kernarg_segment_align: 8
    .kernarg_segment_size: 400
    .language:       OpenCL C
    .language_version:
      - 2
      - 0
    .max_flat_workgroup_size: 1024
    .name:           _ZN9rocsolver6v33100L11gemm_kernelIdiPKdPKPdS4_S6_EEvT0_S7_S7_T1_bT2_lS7_S7_lbT3_lS7_S7_lS8_T4_lS7_S7_l
    .private_segment_fixed_size: 0
    .sgpr_count:     34
    .sgpr_spill_count: 0
    .symbol:         _ZN9rocsolver6v33100L11gemm_kernelIdiPKdPKPdS4_S6_EEvT0_S7_S7_T1_bT2_lS7_S7_lbT3_lS7_S7_lS8_T4_lS7_S7_l.kd
    .uniform_work_group_size: 1
    .uses_dynamic_stack: false
    .vgpr_count:     14
    .vgpr_spill_count: 0
    .wavefront_size: 64
  - .agpr_count:     0
    .args:
      - .offset:         0
        .size:           4
        .value_kind:     by_value
      - .offset:         4
        .size:           4
        .value_kind:     by_value
      - .offset:         8
        .size:           4
        .value_kind:     by_value
      - .offset:         16
        .size:           8
        .value_kind:     by_value
      - .offset:         24
        .size:           1
        .value_kind:     by_value
      - .address_space:  global
        .offset:         32
        .size:           8
        .value_kind:     global_buffer
      - .offset:         40
        .size:           8
        .value_kind:     by_value
      - .offset:         48
        .size:           4
        .value_kind:     by_value
      - .offset:         52
        .size:           4
        .value_kind:     by_value
      - .offset:         56
        .size:           8
        .value_kind:     by_value
      - .offset:         64
        .size:           1
        .value_kind:     by_value
      - .address_space:  global
        .offset:         72
        .size:           8
        .value_kind:     global_buffer
      - .offset:         80
        .size:           8
        .value_kind:     by_value
      - .offset:         88
        .size:           4
        .value_kind:     by_value
      - .offset:         92
        .size:           4
        .value_kind:     by_value
      - .offset:         96
        .size:           8
        .value_kind:     by_value
      - .offset:         104
        .size:           8
        .value_kind:     by_value
      - .address_space:  global
        .offset:         112
        .size:           8
        .value_kind:     global_buffer
      - .offset:         120
        .size:           8
        .value_kind:     by_value
      - .offset:         128
        .size:           4
        .value_kind:     by_value
      - .offset:         132
        .size:           4
        .value_kind:     by_value
      - .offset:         136
        .size:           8
        .value_kind:     by_value
      - .offset:         144
        .size:           4
        .value_kind:     hidden_block_count_x
      - .offset:         148
        .size:           4
        .value_kind:     hidden_block_count_y
      - .offset:         152
        .size:           4
        .value_kind:     hidden_block_count_z
      - .offset:         156
        .size:           2
        .value_kind:     hidden_group_size_x
      - .offset:         158
        .size:           2
        .value_kind:     hidden_group_size_y
      - .offset:         160
        .size:           2
        .value_kind:     hidden_group_size_z
      - .offset:         162
        .size:           2
        .value_kind:     hidden_remainder_x
      - .offset:         164
        .size:           2
        .value_kind:     hidden_remainder_y
      - .offset:         166
        .size:           2
        .value_kind:     hidden_remainder_z
      - .offset:         184
        .size:           8
        .value_kind:     hidden_global_offset_x
      - .offset:         192
        .size:           8
        .value_kind:     hidden_global_offset_y
      - .offset:         200
        .size:           8
        .value_kind:     hidden_global_offset_z
      - .offset:         208
        .size:           2
        .value_kind:     hidden_grid_dims
    .group_segment_fixed_size: 0
    .kernarg_segment_align: 8
    .kernarg_segment_size: 400
    .language:       OpenCL C
    .language_version:
      - 2
      - 0
    .max_flat_workgroup_size: 1024
    .name:           _ZN9rocsolver6v33100L11gemm_kernelIdidPKPdS2_S4_EEvT0_S5_S5_T1_bT2_lS5_S5_lbT3_lS5_S5_lS6_T4_lS5_S5_l
    .private_segment_fixed_size: 0
    .sgpr_count:     32
    .sgpr_spill_count: 0
    .symbol:         _ZN9rocsolver6v33100L11gemm_kernelIdidPKPdS2_S4_EEvT0_S5_S5_T1_bT2_lS5_S5_lbT3_lS5_S5_lS6_T4_lS5_S5_l.kd
    .uniform_work_group_size: 1
    .uses_dynamic_stack: false
    .vgpr_count:     14
    .vgpr_spill_count: 0
    .wavefront_size: 64
  - .agpr_count:     0
    .args:
      - .offset:         0
        .size:           4
        .value_kind:     by_value
      - .offset:         4
        .size:           4
        .value_kind:     by_value
      - .offset:         8
        .size:           4
        .value_kind:     by_value
      - .offset:         12
        .size:           4
        .value_kind:     by_value
      - .offset:         16
        .size:           4
        .value_kind:     by_value
      - .address_space:  global
        .offset:         24
        .size:           8
        .value_kind:     global_buffer
      - .address_space:  global
        .offset:         32
        .size:           8
        .value_kind:     global_buffer
      - .offset:         40
        .size:           8
        .value_kind:     by_value
      - .offset:         48
        .size:           4
        .value_kind:     by_value
      - .offset:         52
        .size:           4
        .value_kind:     by_value
      - .offset:         56
        .size:           8
        .value_kind:     by_value
      - .address_space:  global
        .offset:         64
        .size:           8
        .value_kind:     global_buffer
      - .offset:         72
        .size:           8
        .value_kind:     by_value
      - .offset:         80
        .size:           4
        .value_kind:     by_value
      - .offset:         84
        .size:           4
        .value_kind:     by_value
      - .offset:         88
        .size:           8
        .value_kind:     by_value
      - .address_space:  global
        .offset:         96
        .size:           8
        .value_kind:     global_buffer
      - .address_space:  global
        .offset:         104
        .size:           8
        .value_kind:     global_buffer
      - .offset:         112
        .size:           8
        .value_kind:     by_value
      - .offset:         120
        .size:           4
        .value_kind:     by_value
      - .offset:         124
        .size:           4
        .value_kind:     by_value
      - .offset:         128
        .size:           8
        .value_kind:     by_value
      - .offset:         136
        .size:           4
        .value_kind:     hidden_block_count_x
      - .offset:         140
        .size:           4
        .value_kind:     hidden_block_count_y
      - .offset:         144
        .size:           4
        .value_kind:     hidden_block_count_z
      - .offset:         148
        .size:           2
        .value_kind:     hidden_group_size_x
      - .offset:         150
        .size:           2
        .value_kind:     hidden_group_size_y
      - .offset:         152
        .size:           2
        .value_kind:     hidden_group_size_z
      - .offset:         154
        .size:           2
        .value_kind:     hidden_remainder_x
      - .offset:         156
        .size:           2
        .value_kind:     hidden_remainder_y
      - .offset:         158
        .size:           2
        .value_kind:     hidden_remainder_z
      - .offset:         176
        .size:           8
        .value_kind:     hidden_global_offset_x
      - .offset:         184
        .size:           8
        .value_kind:     hidden_global_offset_y
      - .offset:         192
        .size:           8
        .value_kind:     hidden_global_offset_z
      - .offset:         200
        .size:           2
        .value_kind:     hidden_grid_dims
    .group_segment_fixed_size: 0
    .kernarg_segment_align: 8
    .kernarg_segment_size: 392
    .language:       OpenCL C
    .language_version:
      - 2
      - 0
    .max_flat_workgroup_size: 1024
    .name:           _ZN9rocsolver6v33100L16mfma_gemm_kernelIdiPKdPKPdS6_S4_EEv18rocblas_operation_S7_T0_S8_S8_T1_T2_lS8_S8_lT3_lS8_S8_lS9_T4_lS8_S8_l
    .private_segment_fixed_size: 0
    .sgpr_count:     44
    .sgpr_spill_count: 0
    .symbol:         _ZN9rocsolver6v33100L16mfma_gemm_kernelIdiPKdPKPdS6_S4_EEv18rocblas_operation_S7_T0_S8_S8_T1_T2_lS8_S8_lT3_lS8_S8_lS9_T4_lS8_S8_l.kd
    .uniform_work_group_size: 1
    .uses_dynamic_stack: false
    .vgpr_count:     34
    .vgpr_spill_count: 0
    .wavefront_size: 64
  - .agpr_count:     0
    .args:
      - .offset:         0
        .size:           4
        .value_kind:     by_value
      - .offset:         4
        .size:           4
        .value_kind:     by_value
      - .offset:         8
        .size:           4
        .value_kind:     by_value
      - .offset:         12
        .size:           4
        .value_kind:     by_value
      - .offset:         16
        .size:           4
        .value_kind:     by_value
      - .offset:         24
        .size:           8
        .value_kind:     by_value
      - .address_space:  global
        .offset:         32
        .size:           8
        .value_kind:     global_buffer
      - .offset:         40
        .size:           8
        .value_kind:     by_value
      - .offset:         48
        .size:           4
        .value_kind:     by_value
      - .offset:         52
        .size:           4
        .value_kind:     by_value
      - .offset:         56
        .size:           8
        .value_kind:     by_value
      - .address_space:  global
        .offset:         64
        .size:           8
        .value_kind:     global_buffer
      - .offset:         72
        .size:           8
        .value_kind:     by_value
      - .offset:         80
        .size:           4
        .value_kind:     by_value
      - .offset:         84
        .size:           4
        .value_kind:     by_value
      - .offset:         88
        .size:           8
        .value_kind:     by_value
      - .offset:         96
        .size:           8
        .value_kind:     by_value
      - .address_space:  global
        .offset:         104
        .size:           8
        .value_kind:     global_buffer
      - .offset:         112
        .size:           8
        .value_kind:     by_value
      - .offset:         120
        .size:           4
        .value_kind:     by_value
      - .offset:         124
        .size:           4
        .value_kind:     by_value
      - .offset:         128
        .size:           8
        .value_kind:     by_value
      - .offset:         136
        .size:           4
        .value_kind:     hidden_block_count_x
      - .offset:         140
        .size:           4
        .value_kind:     hidden_block_count_y
      - .offset:         144
        .size:           4
        .value_kind:     hidden_block_count_z
      - .offset:         148
        .size:           2
        .value_kind:     hidden_group_size_x
      - .offset:         150
        .size:           2
        .value_kind:     hidden_group_size_y
      - .offset:         152
        .size:           2
        .value_kind:     hidden_group_size_z
      - .offset:         154
        .size:           2
        .value_kind:     hidden_remainder_x
      - .offset:         156
        .size:           2
        .value_kind:     hidden_remainder_y
      - .offset:         158
        .size:           2
        .value_kind:     hidden_remainder_z
      - .offset:         176
        .size:           8
        .value_kind:     hidden_global_offset_x
      - .offset:         184
        .size:           8
        .value_kind:     hidden_global_offset_y
      - .offset:         192
        .size:           8
        .value_kind:     hidden_global_offset_z
      - .offset:         200
        .size:           2
        .value_kind:     hidden_grid_dims
    .group_segment_fixed_size: 0
    .kernarg_segment_align: 8
    .kernarg_segment_size: 392
    .language:       OpenCL C
    .language_version:
      - 2
      - 0
    .max_flat_workgroup_size: 1024
    .name:           _ZN9rocsolver6v33100L16mfma_gemm_kernelIdidPKPdS4_S2_EEv18rocblas_operation_S5_T0_S6_S6_T1_T2_lS6_S6_lT3_lS6_S6_lS7_T4_lS6_S6_l
    .private_segment_fixed_size: 0
    .sgpr_count:     34
    .sgpr_spill_count: 0
    .symbol:         _ZN9rocsolver6v33100L16mfma_gemm_kernelIdidPKPdS4_S2_EEv18rocblas_operation_S5_T0_S6_S6_T1_T2_lS6_S6_lT3_lS6_S6_lS7_T4_lS6_S6_l.kd
    .uniform_work_group_size: 1
    .uses_dynamic_stack: false
    .vgpr_count:     34
    .vgpr_spill_count: 0
    .wavefront_size: 64
  - .agpr_count:     0
    .args:
      - .offset:         0
        .size:           4
        .value_kind:     by_value
      - .offset:         4
        .size:           4
        .value_kind:     by_value
      - .offset:         8
        .size:           4
        .value_kind:     by_value
      - .address_space:  global
        .offset:         16
        .size:           8
        .value_kind:     global_buffer
      - .offset:         24
        .size:           1
        .value_kind:     by_value
      - .address_space:  global
        .offset:         32
        .size:           8
        .value_kind:     global_buffer
      - .offset:         40
        .size:           8
        .value_kind:     by_value
      - .offset:         48
        .size:           4
        .value_kind:     by_value
      - .offset:         52
        .size:           4
        .value_kind:     by_value
      - .offset:         56
        .size:           8
        .value_kind:     by_value
      - .offset:         64
        .size:           1
        .value_kind:     by_value
      - .address_space:  global
        .offset:         72
        .size:           8
        .value_kind:     global_buffer
      - .offset:         80
        .size:           8
        .value_kind:     by_value
      - .offset:         88
        .size:           4
        .value_kind:     by_value
      - .offset:         92
        .size:           4
        .value_kind:     by_value
      - .offset:         96
        .size:           8
        .value_kind:     by_value
      - .address_space:  global
        .offset:         104
        .size:           8
        .value_kind:     global_buffer
      - .address_space:  global
        .offset:         112
        .size:           8
        .value_kind:     global_buffer
      - .offset:         120
        .size:           8
        .value_kind:     by_value
      - .offset:         128
        .size:           4
        .value_kind:     by_value
      - .offset:         132
        .size:           4
        .value_kind:     by_value
      - .offset:         136
        .size:           8
        .value_kind:     by_value
      - .offset:         144
        .size:           4
        .value_kind:     hidden_block_count_x
      - .offset:         148
        .size:           4
        .value_kind:     hidden_block_count_y
      - .offset:         152
        .size:           4
        .value_kind:     hidden_block_count_z
      - .offset:         156
        .size:           2
        .value_kind:     hidden_group_size_x
      - .offset:         158
        .size:           2
        .value_kind:     hidden_group_size_y
      - .offset:         160
        .size:           2
        .value_kind:     hidden_group_size_z
      - .offset:         162
        .size:           2
        .value_kind:     hidden_remainder_x
      - .offset:         164
        .size:           2
        .value_kind:     hidden_remainder_y
      - .offset:         166
        .size:           2
        .value_kind:     hidden_remainder_z
      - .offset:         184
        .size:           8
        .value_kind:     hidden_global_offset_x
      - .offset:         192
        .size:           8
        .value_kind:     hidden_global_offset_y
      - .offset:         200
        .size:           8
        .value_kind:     hidden_global_offset_z
      - .offset:         208
        .size:           2
        .value_kind:     hidden_grid_dims
    .group_segment_fixed_size: 0
    .kernarg_segment_align: 8
    .kernarg_segment_size: 400
    .language:       OpenCL C
    .language_version:
      - 2
      - 0
    .max_flat_workgroup_size: 1024
    .name:           _ZN9rocsolver6v33100L11gemm_kernelIdiPKdPKPdS6_S4_EEvT0_S7_S7_T1_bT2_lS7_S7_lbT3_lS7_S7_lS8_T4_lS7_S7_l
    .private_segment_fixed_size: 0
    .sgpr_count:     32
    .sgpr_spill_count: 0
    .symbol:         _ZN9rocsolver6v33100L11gemm_kernelIdiPKdPKPdS6_S4_EEvT0_S7_S7_T1_bT2_lS7_S7_lbT3_lS7_S7_lS8_T4_lS7_S7_l.kd
    .uniform_work_group_size: 1
    .uses_dynamic_stack: false
    .vgpr_count:     14
    .vgpr_spill_count: 0
    .wavefront_size: 64
  - .agpr_count:     0
    .args:
      - .offset:         0
        .size:           4
        .value_kind:     by_value
      - .offset:         4
        .size:           4
        .value_kind:     by_value
      - .offset:         8
        .size:           4
        .value_kind:     by_value
      - .offset:         16
        .size:           8
        .value_kind:     by_value
      - .offset:         24
        .size:           1
        .value_kind:     by_value
      - .address_space:  global
        .offset:         32
        .size:           8
        .value_kind:     global_buffer
      - .offset:         40
        .size:           8
        .value_kind:     by_value
      - .offset:         48
        .size:           4
        .value_kind:     by_value
      - .offset:         52
        .size:           4
        .value_kind:     by_value
      - .offset:         56
        .size:           8
        .value_kind:     by_value
      - .offset:         64
        .size:           1
        .value_kind:     by_value
      - .address_space:  global
        .offset:         72
        .size:           8
        .value_kind:     global_buffer
      - .offset:         80
        .size:           8
        .value_kind:     by_value
      - .offset:         88
        .size:           4
        .value_kind:     by_value
      - .offset:         92
        .size:           4
        .value_kind:     by_value
      - .offset:         96
        .size:           8
        .value_kind:     by_value
      - .offset:         104
        .size:           8
        .value_kind:     by_value
      - .address_space:  global
        .offset:         112
        .size:           8
        .value_kind:     global_buffer
      - .offset:         120
        .size:           8
        .value_kind:     by_value
      - .offset:         128
        .size:           4
        .value_kind:     by_value
      - .offset:         132
        .size:           4
        .value_kind:     by_value
      - .offset:         136
        .size:           8
        .value_kind:     by_value
      - .offset:         144
        .size:           4
        .value_kind:     hidden_block_count_x
      - .offset:         148
        .size:           4
        .value_kind:     hidden_block_count_y
      - .offset:         152
        .size:           4
        .value_kind:     hidden_block_count_z
      - .offset:         156
        .size:           2
        .value_kind:     hidden_group_size_x
      - .offset:         158
        .size:           2
        .value_kind:     hidden_group_size_y
      - .offset:         160
        .size:           2
        .value_kind:     hidden_group_size_z
      - .offset:         162
        .size:           2
        .value_kind:     hidden_remainder_x
      - .offset:         164
        .size:           2
        .value_kind:     hidden_remainder_y
      - .offset:         166
        .size:           2
        .value_kind:     hidden_remainder_z
      - .offset:         184
        .size:           8
        .value_kind:     hidden_global_offset_x
      - .offset:         192
        .size:           8
        .value_kind:     hidden_global_offset_y
      - .offset:         200
        .size:           8
        .value_kind:     hidden_global_offset_z
      - .offset:         208
        .size:           2
        .value_kind:     hidden_grid_dims
    .group_segment_fixed_size: 0
    .kernarg_segment_align: 8
    .kernarg_segment_size: 400
    .language:       OpenCL C
    .language_version:
      - 2
      - 0
    .max_flat_workgroup_size: 1024
    .name:           _ZN9rocsolver6v33100L11gemm_kernelIdidPKPdS4_S2_EEvT0_S5_S5_T1_bT2_lS5_S5_lbT3_lS5_S5_lS6_T4_lS5_S5_l
    .private_segment_fixed_size: 0
    .sgpr_count:     24
    .sgpr_spill_count: 0
    .symbol:         _ZN9rocsolver6v33100L11gemm_kernelIdidPKPdS4_S2_EEvT0_S5_S5_T1_bT2_lS5_S5_lbT3_lS5_S5_lS6_T4_lS5_S5_l.kd
    .uniform_work_group_size: 1
    .uses_dynamic_stack: false
    .vgpr_count:     14
    .vgpr_spill_count: 0
    .wavefront_size: 64
  - .agpr_count:     0
    .args:
      - .offset:         0
        .size:           4
        .value_kind:     by_value
      - .offset:         4
        .size:           4
        .value_kind:     by_value
      - .offset:         8
        .size:           4
        .value_kind:     by_value
      - .offset:         12
        .size:           4
        .value_kind:     by_value
      - .offset:         16
        .size:           4
        .value_kind:     by_value
      - .address_space:  global
        .offset:         24
        .size:           8
        .value_kind:     global_buffer
      - .address_space:  global
        .offset:         32
        .size:           8
        .value_kind:     global_buffer
      - .offset:         40
        .size:           8
        .value_kind:     by_value
      - .offset:         48
        .size:           4
        .value_kind:     by_value
      - .offset:         52
        .size:           4
        .value_kind:     by_value
      - .offset:         56
        .size:           8
        .value_kind:     by_value
      - .address_space:  global
        .offset:         64
        .size:           8
        .value_kind:     global_buffer
      - .offset:         72
        .size:           8
        .value_kind:     by_value
      - .offset:         80
        .size:           4
        .value_kind:     by_value
      - .offset:         84
        .size:           4
        .value_kind:     by_value
      - .offset:         88
        .size:           8
        .value_kind:     by_value
      - .address_space:  global
        .offset:         96
        .size:           8
        .value_kind:     global_buffer
      - .address_space:  global
        .offset:         104
        .size:           8
        .value_kind:     global_buffer
      - .offset:         112
        .size:           8
        .value_kind:     by_value
      - .offset:         120
        .size:           4
        .value_kind:     by_value
      - .offset:         124
        .size:           4
        .value_kind:     by_value
      - .offset:         128
        .size:           8
        .value_kind:     by_value
      - .offset:         136
        .size:           4
        .value_kind:     hidden_block_count_x
      - .offset:         140
        .size:           4
        .value_kind:     hidden_block_count_y
      - .offset:         144
        .size:           4
        .value_kind:     hidden_block_count_z
      - .offset:         148
        .size:           2
        .value_kind:     hidden_group_size_x
      - .offset:         150
        .size:           2
        .value_kind:     hidden_group_size_y
      - .offset:         152
        .size:           2
        .value_kind:     hidden_group_size_z
      - .offset:         154
        .size:           2
        .value_kind:     hidden_remainder_x
      - .offset:         156
        .size:           2
        .value_kind:     hidden_remainder_y
      - .offset:         158
        .size:           2
        .value_kind:     hidden_remainder_z
      - .offset:         176
        .size:           8
        .value_kind:     hidden_global_offset_x
      - .offset:         184
        .size:           8
        .value_kind:     hidden_global_offset_y
      - .offset:         192
        .size:           8
        .value_kind:     hidden_global_offset_z
      - .offset:         200
        .size:           2
        .value_kind:     hidden_grid_dims
    .group_segment_fixed_size: 0
    .kernarg_segment_align: 8
    .kernarg_segment_size: 392
    .language:       OpenCL C
    .language_version:
      - 2
      - 0
    .max_flat_workgroup_size: 1024
    .name:           _ZN9rocsolver6v33100L16mfma_gemm_kernelIdiPKdPKPdS4_S4_EEv18rocblas_operation_S7_T0_S8_S8_T1_T2_lS8_S8_lT3_lS8_S8_lS9_T4_lS8_S8_l
    .private_segment_fixed_size: 0
    .sgpr_count:     44
    .sgpr_spill_count: 0
    .symbol:         _ZN9rocsolver6v33100L16mfma_gemm_kernelIdiPKdPKPdS4_S4_EEv18rocblas_operation_S7_T0_S8_S8_T1_T2_lS8_S8_lT3_lS8_S8_lS9_T4_lS8_S8_l.kd
    .uniform_work_group_size: 1
    .uses_dynamic_stack: false
    .vgpr_count:     34
    .vgpr_spill_count: 0
    .wavefront_size: 64
  - .agpr_count:     0
    .args:
      - .offset:         0
        .size:           4
        .value_kind:     by_value
      - .offset:         4
        .size:           4
        .value_kind:     by_value
      - .offset:         8
        .size:           4
        .value_kind:     by_value
      - .offset:         12
        .size:           4
        .value_kind:     by_value
      - .offset:         16
        .size:           4
        .value_kind:     by_value
      - .offset:         24
        .size:           8
        .value_kind:     by_value
      - .address_space:  global
        .offset:         32
        .size:           8
        .value_kind:     global_buffer
      - .offset:         40
        .size:           8
        .value_kind:     by_value
      - .offset:         48
        .size:           4
        .value_kind:     by_value
      - .offset:         52
        .size:           4
        .value_kind:     by_value
      - .offset:         56
        .size:           8
        .value_kind:     by_value
      - .address_space:  global
        .offset:         64
        .size:           8
        .value_kind:     global_buffer
      - .offset:         72
        .size:           8
        .value_kind:     by_value
      - .offset:         80
        .size:           4
        .value_kind:     by_value
      - .offset:         84
        .size:           4
        .value_kind:     by_value
      - .offset:         88
        .size:           8
        .value_kind:     by_value
      - .offset:         96
        .size:           8
        .value_kind:     by_value
      - .address_space:  global
        .offset:         104
        .size:           8
        .value_kind:     global_buffer
      - .offset:         112
        .size:           8
        .value_kind:     by_value
      - .offset:         120
        .size:           4
        .value_kind:     by_value
      - .offset:         124
        .size:           4
        .value_kind:     by_value
      - .offset:         128
        .size:           8
        .value_kind:     by_value
      - .offset:         136
        .size:           4
        .value_kind:     hidden_block_count_x
      - .offset:         140
        .size:           4
        .value_kind:     hidden_block_count_y
      - .offset:         144
        .size:           4
        .value_kind:     hidden_block_count_z
      - .offset:         148
        .size:           2
        .value_kind:     hidden_group_size_x
      - .offset:         150
        .size:           2
        .value_kind:     hidden_group_size_y
      - .offset:         152
        .size:           2
        .value_kind:     hidden_group_size_z
      - .offset:         154
        .size:           2
        .value_kind:     hidden_remainder_x
      - .offset:         156
        .size:           2
        .value_kind:     hidden_remainder_y
      - .offset:         158
        .size:           2
        .value_kind:     hidden_remainder_z
      - .offset:         176
        .size:           8
        .value_kind:     hidden_global_offset_x
      - .offset:         184
        .size:           8
        .value_kind:     hidden_global_offset_y
      - .offset:         192
        .size:           8
        .value_kind:     hidden_global_offset_z
      - .offset:         200
        .size:           2
        .value_kind:     hidden_grid_dims
    .group_segment_fixed_size: 0
    .kernarg_segment_align: 8
    .kernarg_segment_size: 392
    .language:       OpenCL C
    .language_version:
      - 2
      - 0
    .max_flat_workgroup_size: 1024
    .name:           _ZN9rocsolver6v33100L16mfma_gemm_kernelIdidPKPdS2_S2_EEv18rocblas_operation_S5_T0_S6_S6_T1_T2_lS6_S6_lT3_lS6_S6_lS7_T4_lS6_S6_l
    .private_segment_fixed_size: 0
    .sgpr_count:     44
    .sgpr_spill_count: 0
    .symbol:         _ZN9rocsolver6v33100L16mfma_gemm_kernelIdidPKPdS2_S2_EEv18rocblas_operation_S5_T0_S6_S6_T1_T2_lS6_S6_lT3_lS6_S6_lS7_T4_lS6_S6_l.kd
    .uniform_work_group_size: 1
    .uses_dynamic_stack: false
    .vgpr_count:     34
    .vgpr_spill_count: 0
    .wavefront_size: 64
  - .agpr_count:     0
    .args:
      - .offset:         0
        .size:           4
        .value_kind:     by_value
      - .offset:         4
        .size:           4
        .value_kind:     by_value
      - .offset:         8
        .size:           4
        .value_kind:     by_value
      - .address_space:  global
        .offset:         16
        .size:           8
        .value_kind:     global_buffer
      - .offset:         24
        .size:           1
        .value_kind:     by_value
      - .address_space:  global
        .offset:         32
        .size:           8
        .value_kind:     global_buffer
      - .offset:         40
        .size:           8
        .value_kind:     by_value
      - .offset:         48
        .size:           4
        .value_kind:     by_value
      - .offset:         52
        .size:           4
        .value_kind:     by_value
      - .offset:         56
        .size:           8
        .value_kind:     by_value
      - .offset:         64
        .size:           1
        .value_kind:     by_value
      - .address_space:  global
        .offset:         72
        .size:           8
        .value_kind:     global_buffer
      - .offset:         80
        .size:           8
        .value_kind:     by_value
      - .offset:         88
        .size:           4
        .value_kind:     by_value
      - .offset:         92
        .size:           4
        .value_kind:     by_value
      - .offset:         96
        .size:           8
        .value_kind:     by_value
      - .address_space:  global
        .offset:         104
        .size:           8
        .value_kind:     global_buffer
      - .address_space:  global
        .offset:         112
        .size:           8
        .value_kind:     global_buffer
      - .offset:         120
        .size:           8
        .value_kind:     by_value
      - .offset:         128
        .size:           4
        .value_kind:     by_value
      - .offset:         132
        .size:           4
        .value_kind:     by_value
      - .offset:         136
        .size:           8
        .value_kind:     by_value
      - .offset:         144
        .size:           4
        .value_kind:     hidden_block_count_x
      - .offset:         148
        .size:           4
        .value_kind:     hidden_block_count_y
      - .offset:         152
        .size:           4
        .value_kind:     hidden_block_count_z
      - .offset:         156
        .size:           2
        .value_kind:     hidden_group_size_x
      - .offset:         158
        .size:           2
        .value_kind:     hidden_group_size_y
      - .offset:         160
        .size:           2
        .value_kind:     hidden_group_size_z
      - .offset:         162
        .size:           2
        .value_kind:     hidden_remainder_x
      - .offset:         164
        .size:           2
        .value_kind:     hidden_remainder_y
      - .offset:         166
        .size:           2
        .value_kind:     hidden_remainder_z
      - .offset:         184
        .size:           8
        .value_kind:     hidden_global_offset_x
      - .offset:         192
        .size:           8
        .value_kind:     hidden_global_offset_y
      - .offset:         200
        .size:           8
        .value_kind:     hidden_global_offset_z
      - .offset:         208
        .size:           2
        .value_kind:     hidden_grid_dims
    .group_segment_fixed_size: 0
    .kernarg_segment_align: 8
    .kernarg_segment_size: 400
    .language:       OpenCL C
    .language_version:
      - 2
      - 0
    .max_flat_workgroup_size: 1024
    .name:           _ZN9rocsolver6v33100L11gemm_kernelIdiPKdPKPdS4_S4_EEvT0_S7_S7_T1_bT2_lS7_S7_lbT3_lS7_S7_lS8_T4_lS7_S7_l
    .private_segment_fixed_size: 0
    .sgpr_count:     34
    .sgpr_spill_count: 0
    .symbol:         _ZN9rocsolver6v33100L11gemm_kernelIdiPKdPKPdS4_S4_EEvT0_S7_S7_T1_bT2_lS7_S7_lbT3_lS7_S7_lS8_T4_lS7_S7_l.kd
    .uniform_work_group_size: 1
    .uses_dynamic_stack: false
    .vgpr_count:     14
    .vgpr_spill_count: 0
    .wavefront_size: 64
  - .agpr_count:     0
    .args:
      - .offset:         0
        .size:           4
        .value_kind:     by_value
      - .offset:         4
        .size:           4
        .value_kind:     by_value
      - .offset:         8
        .size:           4
        .value_kind:     by_value
      - .offset:         16
        .size:           8
        .value_kind:     by_value
      - .offset:         24
        .size:           1
        .value_kind:     by_value
      - .address_space:  global
        .offset:         32
        .size:           8
        .value_kind:     global_buffer
      - .offset:         40
        .size:           8
        .value_kind:     by_value
      - .offset:         48
        .size:           4
        .value_kind:     by_value
      - .offset:         52
        .size:           4
        .value_kind:     by_value
      - .offset:         56
        .size:           8
        .value_kind:     by_value
      - .offset:         64
        .size:           1
        .value_kind:     by_value
      - .address_space:  global
        .offset:         72
        .size:           8
        .value_kind:     global_buffer
      - .offset:         80
        .size:           8
        .value_kind:     by_value
      - .offset:         88
        .size:           4
        .value_kind:     by_value
      - .offset:         92
        .size:           4
        .value_kind:     by_value
      - .offset:         96
        .size:           8
        .value_kind:     by_value
      - .offset:         104
        .size:           8
        .value_kind:     by_value
      - .address_space:  global
        .offset:         112
        .size:           8
        .value_kind:     global_buffer
      - .offset:         120
        .size:           8
        .value_kind:     by_value
      - .offset:         128
        .size:           4
        .value_kind:     by_value
      - .offset:         132
        .size:           4
        .value_kind:     by_value
      - .offset:         136
        .size:           8
        .value_kind:     by_value
      - .offset:         144
        .size:           4
        .value_kind:     hidden_block_count_x
      - .offset:         148
        .size:           4
        .value_kind:     hidden_block_count_y
      - .offset:         152
        .size:           4
        .value_kind:     hidden_block_count_z
      - .offset:         156
        .size:           2
        .value_kind:     hidden_group_size_x
      - .offset:         158
        .size:           2
        .value_kind:     hidden_group_size_y
      - .offset:         160
        .size:           2
        .value_kind:     hidden_group_size_z
      - .offset:         162
        .size:           2
        .value_kind:     hidden_remainder_x
      - .offset:         164
        .size:           2
        .value_kind:     hidden_remainder_y
      - .offset:         166
        .size:           2
        .value_kind:     hidden_remainder_z
      - .offset:         184
        .size:           8
        .value_kind:     hidden_global_offset_x
      - .offset:         192
        .size:           8
        .value_kind:     hidden_global_offset_y
      - .offset:         200
        .size:           8
        .value_kind:     hidden_global_offset_z
      - .offset:         208
        .size:           2
        .value_kind:     hidden_grid_dims
    .group_segment_fixed_size: 0
    .kernarg_segment_align: 8
    .kernarg_segment_size: 400
    .language:       OpenCL C
    .language_version:
      - 2
      - 0
    .max_flat_workgroup_size: 1024
    .name:           _ZN9rocsolver6v33100L11gemm_kernelIdidPKPdS2_S2_EEvT0_S5_S5_T1_bT2_lS5_S5_lbT3_lS5_S5_lS6_T4_lS5_S5_l
    .private_segment_fixed_size: 0
    .sgpr_count:     32
    .sgpr_spill_count: 0
    .symbol:         _ZN9rocsolver6v33100L11gemm_kernelIdidPKPdS2_S2_EEvT0_S5_S5_T1_bT2_lS5_S5_lbT3_lS5_S5_lS6_T4_lS5_S5_l.kd
    .uniform_work_group_size: 1
    .uses_dynamic_stack: false
    .vgpr_count:     14
    .vgpr_spill_count: 0
    .wavefront_size: 64
  - .agpr_count:     0
    .args:
      - .offset:         0
        .size:           4
        .value_kind:     by_value
      - .offset:         4
        .size:           4
        .value_kind:     by_value
      - .offset:         8
        .size:           4
        .value_kind:     by_value
      - .offset:         12
        .size:           4
        .value_kind:     by_value
      - .offset:         16
        .size:           4
        .value_kind:     by_value
      - .address_space:  global
        .offset:         24
        .size:           8
        .value_kind:     global_buffer
      - .address_space:  global
        .offset:         32
        .size:           8
        .value_kind:     global_buffer
      - .offset:         40
        .size:           8
        .value_kind:     by_value
      - .offset:         48
        .size:           4
        .value_kind:     by_value
      - .offset:         52
        .size:           4
        .value_kind:     by_value
      - .offset:         56
        .size:           8
        .value_kind:     by_value
      - .address_space:  global
        .offset:         64
        .size:           8
        .value_kind:     global_buffer
      - .offset:         72
        .size:           8
        .value_kind:     by_value
      - .offset:         80
        .size:           4
        .value_kind:     by_value
      - .offset:         84
        .size:           4
        .value_kind:     by_value
      - .offset:         88
        .size:           8
        .value_kind:     by_value
      - .address_space:  global
        .offset:         96
        .size:           8
        .value_kind:     global_buffer
      - .address_space:  global
        .offset:         104
        .size:           8
        .value_kind:     global_buffer
      - .offset:         112
        .size:           8
        .value_kind:     by_value
      - .offset:         120
        .size:           4
        .value_kind:     by_value
      - .offset:         124
        .size:           4
        .value_kind:     by_value
      - .offset:         128
        .size:           8
        .value_kind:     by_value
      - .offset:         136
        .size:           4
        .value_kind:     hidden_block_count_x
      - .offset:         140
        .size:           4
        .value_kind:     hidden_block_count_y
      - .offset:         144
        .size:           4
        .value_kind:     hidden_block_count_z
      - .offset:         148
        .size:           2
        .value_kind:     hidden_group_size_x
      - .offset:         150
        .size:           2
        .value_kind:     hidden_group_size_y
      - .offset:         152
        .size:           2
        .value_kind:     hidden_group_size_z
      - .offset:         154
        .size:           2
        .value_kind:     hidden_remainder_x
      - .offset:         156
        .size:           2
        .value_kind:     hidden_remainder_y
      - .offset:         158
        .size:           2
        .value_kind:     hidden_remainder_z
      - .offset:         176
        .size:           8
        .value_kind:     hidden_global_offset_x
      - .offset:         184
        .size:           8
        .value_kind:     hidden_global_offset_y
      - .offset:         192
        .size:           8
        .value_kind:     hidden_global_offset_z
      - .offset:         200
        .size:           2
        .value_kind:     hidden_grid_dims
    .group_segment_fixed_size: 0
    .kernarg_segment_align: 8
    .kernarg_segment_size: 392
    .language:       OpenCL C
    .language_version:
      - 2
      - 0
    .max_flat_workgroup_size: 1024
    .name:           _ZN9rocsolver6v33100L16mfma_gemm_kernelIdiPKdPdPKS4_S4_EEv18rocblas_operation_S7_T0_S8_S8_T1_T2_lS8_S8_lT3_lS8_S8_lS9_T4_lS8_S8_l
    .private_segment_fixed_size: 0
    .sgpr_count:     42
    .sgpr_spill_count: 0
    .symbol:         _ZN9rocsolver6v33100L16mfma_gemm_kernelIdiPKdPdPKS4_S4_EEv18rocblas_operation_S7_T0_S8_S8_T1_T2_lS8_S8_lT3_lS8_S8_lS9_T4_lS8_S8_l.kd
    .uniform_work_group_size: 1
    .uses_dynamic_stack: false
    .vgpr_count:     34
    .vgpr_spill_count: 0
    .wavefront_size: 64
  - .agpr_count:     0
    .args:
      - .offset:         0
        .size:           4
        .value_kind:     by_value
      - .offset:         4
        .size:           4
        .value_kind:     by_value
      - .offset:         8
        .size:           4
        .value_kind:     by_value
      - .offset:         12
        .size:           4
        .value_kind:     by_value
      - .offset:         16
        .size:           4
        .value_kind:     by_value
      - .offset:         24
        .size:           8
        .value_kind:     by_value
      - .address_space:  global
        .offset:         32
        .size:           8
        .value_kind:     global_buffer
      - .offset:         40
        .size:           8
        .value_kind:     by_value
      - .offset:         48
        .size:           4
        .value_kind:     by_value
      - .offset:         52
        .size:           4
        .value_kind:     by_value
      - .offset:         56
        .size:           8
        .value_kind:     by_value
      - .address_space:  global
        .offset:         64
        .size:           8
        .value_kind:     global_buffer
      - .offset:         72
        .size:           8
        .value_kind:     by_value
      - .offset:         80
        .size:           4
        .value_kind:     by_value
      - .offset:         84
        .size:           4
        .value_kind:     by_value
      - .offset:         88
        .size:           8
        .value_kind:     by_value
      - .offset:         96
        .size:           8
        .value_kind:     by_value
      - .address_space:  global
        .offset:         104
        .size:           8
        .value_kind:     global_buffer
      - .offset:         112
        .size:           8
        .value_kind:     by_value
      - .offset:         120
        .size:           4
        .value_kind:     by_value
      - .offset:         124
        .size:           4
        .value_kind:     by_value
      - .offset:         128
        .size:           8
        .value_kind:     by_value
      - .offset:         136
        .size:           4
        .value_kind:     hidden_block_count_x
      - .offset:         140
        .size:           4
        .value_kind:     hidden_block_count_y
      - .offset:         144
        .size:           4
        .value_kind:     hidden_block_count_z
      - .offset:         148
        .size:           2
        .value_kind:     hidden_group_size_x
      - .offset:         150
        .size:           2
        .value_kind:     hidden_group_size_y
      - .offset:         152
        .size:           2
        .value_kind:     hidden_group_size_z
      - .offset:         154
        .size:           2
        .value_kind:     hidden_remainder_x
      - .offset:         156
        .size:           2
        .value_kind:     hidden_remainder_y
      - .offset:         158
        .size:           2
        .value_kind:     hidden_remainder_z
      - .offset:         176
        .size:           8
        .value_kind:     hidden_global_offset_x
      - .offset:         184
        .size:           8
        .value_kind:     hidden_global_offset_y
      - .offset:         192
        .size:           8
        .value_kind:     hidden_global_offset_z
      - .offset:         200
        .size:           2
        .value_kind:     hidden_grid_dims
    .group_segment_fixed_size: 0
    .kernarg_segment_align: 8
    .kernarg_segment_size: 392
    .language:       OpenCL C
    .language_version:
      - 2
      - 0
    .max_flat_workgroup_size: 1024
    .name:           _ZN9rocsolver6v33100L16mfma_gemm_kernelIdidPdPKS2_S2_EEv18rocblas_operation_S5_T0_S6_S6_T1_T2_lS6_S6_lT3_lS6_S6_lS7_T4_lS6_S6_l
    .private_segment_fixed_size: 0
    .sgpr_count:     33
    .sgpr_spill_count: 0
    .symbol:         _ZN9rocsolver6v33100L16mfma_gemm_kernelIdidPdPKS2_S2_EEv18rocblas_operation_S5_T0_S6_S6_T1_T2_lS6_S6_lT3_lS6_S6_lS7_T4_lS6_S6_l.kd
    .uniform_work_group_size: 1
    .uses_dynamic_stack: false
    .vgpr_count:     34
    .vgpr_spill_count: 0
    .wavefront_size: 64
  - .agpr_count:     0
    .args:
      - .offset:         0
        .size:           4
        .value_kind:     by_value
      - .offset:         4
        .size:           4
        .value_kind:     by_value
      - .offset:         8
        .size:           4
        .value_kind:     by_value
      - .address_space:  global
        .offset:         16
        .size:           8
        .value_kind:     global_buffer
      - .offset:         24
        .size:           1
        .value_kind:     by_value
      - .address_space:  global
        .offset:         32
        .size:           8
        .value_kind:     global_buffer
      - .offset:         40
        .size:           8
        .value_kind:     by_value
      - .offset:         48
        .size:           4
        .value_kind:     by_value
      - .offset:         52
        .size:           4
        .value_kind:     by_value
      - .offset:         56
        .size:           8
        .value_kind:     by_value
      - .offset:         64
        .size:           1
        .value_kind:     by_value
      - .address_space:  global
        .offset:         72
        .size:           8
        .value_kind:     global_buffer
      - .offset:         80
        .size:           8
        .value_kind:     by_value
      - .offset:         88
        .size:           4
        .value_kind:     by_value
      - .offset:         92
        .size:           4
        .value_kind:     by_value
      - .offset:         96
        .size:           8
        .value_kind:     by_value
      - .address_space:  global
        .offset:         104
        .size:           8
        .value_kind:     global_buffer
      - .address_space:  global
        .offset:         112
        .size:           8
        .value_kind:     global_buffer
      - .offset:         120
        .size:           8
        .value_kind:     by_value
      - .offset:         128
        .size:           4
        .value_kind:     by_value
      - .offset:         132
        .size:           4
        .value_kind:     by_value
      - .offset:         136
        .size:           8
        .value_kind:     by_value
      - .offset:         144
        .size:           4
        .value_kind:     hidden_block_count_x
      - .offset:         148
        .size:           4
        .value_kind:     hidden_block_count_y
      - .offset:         152
        .size:           4
        .value_kind:     hidden_block_count_z
      - .offset:         156
        .size:           2
        .value_kind:     hidden_group_size_x
      - .offset:         158
        .size:           2
        .value_kind:     hidden_group_size_y
      - .offset:         160
        .size:           2
        .value_kind:     hidden_group_size_z
      - .offset:         162
        .size:           2
        .value_kind:     hidden_remainder_x
      - .offset:         164
        .size:           2
        .value_kind:     hidden_remainder_y
      - .offset:         166
        .size:           2
        .value_kind:     hidden_remainder_z
      - .offset:         184
        .size:           8
        .value_kind:     hidden_global_offset_x
      - .offset:         192
        .size:           8
        .value_kind:     hidden_global_offset_y
      - .offset:         200
        .size:           8
        .value_kind:     hidden_global_offset_z
      - .offset:         208
        .size:           2
        .value_kind:     hidden_grid_dims
    .group_segment_fixed_size: 0
    .kernarg_segment_align: 8
    .kernarg_segment_size: 400
    .language:       OpenCL C
    .language_version:
      - 2
      - 0
    .max_flat_workgroup_size: 1024
    .name:           _ZN9rocsolver6v33100L11gemm_kernelIdiPKdPdPKS4_S4_EEvT0_S7_S7_T1_bT2_lS7_S7_lbT3_lS7_S7_lS8_T4_lS7_S7_l
    .private_segment_fixed_size: 0
    .sgpr_count:     34
    .sgpr_spill_count: 0
    .symbol:         _ZN9rocsolver6v33100L11gemm_kernelIdiPKdPdPKS4_S4_EEvT0_S7_S7_T1_bT2_lS7_S7_lbT3_lS7_S7_lS8_T4_lS7_S7_l.kd
    .uniform_work_group_size: 1
    .uses_dynamic_stack: false
    .vgpr_count:     14
    .vgpr_spill_count: 0
    .wavefront_size: 64
  - .agpr_count:     0
    .args:
      - .offset:         0
        .size:           4
        .value_kind:     by_value
      - .offset:         4
        .size:           4
        .value_kind:     by_value
      - .offset:         8
        .size:           4
        .value_kind:     by_value
      - .offset:         16
        .size:           8
        .value_kind:     by_value
      - .offset:         24
        .size:           1
        .value_kind:     by_value
      - .address_space:  global
        .offset:         32
        .size:           8
        .value_kind:     global_buffer
      - .offset:         40
        .size:           8
        .value_kind:     by_value
      - .offset:         48
        .size:           4
        .value_kind:     by_value
      - .offset:         52
        .size:           4
        .value_kind:     by_value
      - .offset:         56
        .size:           8
        .value_kind:     by_value
      - .offset:         64
        .size:           1
        .value_kind:     by_value
      - .address_space:  global
        .offset:         72
        .size:           8
        .value_kind:     global_buffer
      - .offset:         80
        .size:           8
        .value_kind:     by_value
      - .offset:         88
        .size:           4
        .value_kind:     by_value
      - .offset:         92
        .size:           4
        .value_kind:     by_value
      - .offset:         96
        .size:           8
        .value_kind:     by_value
      - .offset:         104
        .size:           8
        .value_kind:     by_value
      - .address_space:  global
        .offset:         112
        .size:           8
        .value_kind:     global_buffer
      - .offset:         120
        .size:           8
        .value_kind:     by_value
      - .offset:         128
        .size:           4
        .value_kind:     by_value
      - .offset:         132
        .size:           4
        .value_kind:     by_value
      - .offset:         136
        .size:           8
        .value_kind:     by_value
      - .offset:         144
        .size:           4
        .value_kind:     hidden_block_count_x
      - .offset:         148
        .size:           4
        .value_kind:     hidden_block_count_y
      - .offset:         152
        .size:           4
        .value_kind:     hidden_block_count_z
      - .offset:         156
        .size:           2
        .value_kind:     hidden_group_size_x
      - .offset:         158
        .size:           2
        .value_kind:     hidden_group_size_y
      - .offset:         160
        .size:           2
        .value_kind:     hidden_group_size_z
      - .offset:         162
        .size:           2
        .value_kind:     hidden_remainder_x
      - .offset:         164
        .size:           2
        .value_kind:     hidden_remainder_y
      - .offset:         166
        .size:           2
        .value_kind:     hidden_remainder_z
      - .offset:         184
        .size:           8
        .value_kind:     hidden_global_offset_x
      - .offset:         192
        .size:           8
        .value_kind:     hidden_global_offset_y
      - .offset:         200
        .size:           8
        .value_kind:     hidden_global_offset_z
      - .offset:         208
        .size:           2
        .value_kind:     hidden_grid_dims
    .group_segment_fixed_size: 0
    .kernarg_segment_align: 8
    .kernarg_segment_size: 400
    .language:       OpenCL C
    .language_version:
      - 2
      - 0
    .max_flat_workgroup_size: 1024
    .name:           _ZN9rocsolver6v33100L11gemm_kernelIdidPdPKS2_S2_EEvT0_S5_S5_T1_bT2_lS5_S5_lbT3_lS5_S5_lS6_T4_lS5_S5_l
    .private_segment_fixed_size: 0
    .sgpr_count:     28
    .sgpr_spill_count: 0
    .symbol:         _ZN9rocsolver6v33100L11gemm_kernelIdidPdPKS2_S2_EEvT0_S5_S5_T1_bT2_lS5_S5_lbT3_lS5_S5_lS6_T4_lS5_S5_l.kd
    .uniform_work_group_size: 1
    .uses_dynamic_stack: false
    .vgpr_count:     14
    .vgpr_spill_count: 0
    .wavefront_size: 64
  - .agpr_count:     0
    .args:
      - .offset:         0
        .size:           4
        .value_kind:     by_value
      - .offset:         4
        .size:           4
        .value_kind:     by_value
      - .offset:         8
        .size:           4
        .value_kind:     by_value
      - .offset:         12
        .size:           4
        .value_kind:     by_value
      - .offset:         16
        .size:           4
        .value_kind:     by_value
      - .address_space:  global
        .offset:         24
        .size:           8
        .value_kind:     global_buffer
      - .address_space:  global
        .offset:         32
        .size:           8
        .value_kind:     global_buffer
      - .offset:         40
        .size:           8
        .value_kind:     by_value
      - .offset:         48
        .size:           4
        .value_kind:     by_value
      - .offset:         52
        .size:           4
        .value_kind:     by_value
      - .offset:         56
        .size:           8
        .value_kind:     by_value
      - .address_space:  global
        .offset:         64
        .size:           8
        .value_kind:     global_buffer
      - .offset:         72
        .size:           8
        .value_kind:     by_value
      - .offset:         80
        .size:           4
        .value_kind:     by_value
      - .offset:         84
        .size:           4
        .value_kind:     by_value
      - .offset:         88
        .size:           8
        .value_kind:     by_value
      - .address_space:  global
        .offset:         96
        .size:           8
        .value_kind:     global_buffer
      - .address_space:  global
        .offset:         104
        .size:           8
        .value_kind:     global_buffer
      - .offset:         112
        .size:           8
        .value_kind:     by_value
      - .offset:         120
        .size:           4
        .value_kind:     by_value
      - .offset:         124
        .size:           4
        .value_kind:     by_value
      - .offset:         128
        .size:           8
        .value_kind:     by_value
      - .offset:         136
        .size:           4
        .value_kind:     hidden_block_count_x
      - .offset:         140
        .size:           4
        .value_kind:     hidden_block_count_y
      - .offset:         144
        .size:           4
        .value_kind:     hidden_block_count_z
      - .offset:         148
        .size:           2
        .value_kind:     hidden_group_size_x
      - .offset:         150
        .size:           2
        .value_kind:     hidden_group_size_y
      - .offset:         152
        .size:           2
        .value_kind:     hidden_group_size_z
      - .offset:         154
        .size:           2
        .value_kind:     hidden_remainder_x
      - .offset:         156
        .size:           2
        .value_kind:     hidden_remainder_y
      - .offset:         158
        .size:           2
        .value_kind:     hidden_remainder_z
      - .offset:         176
        .size:           8
        .value_kind:     hidden_global_offset_x
      - .offset:         184
        .size:           8
        .value_kind:     hidden_global_offset_y
      - .offset:         192
        .size:           8
        .value_kind:     hidden_global_offset_z
      - .offset:         200
        .size:           2
        .value_kind:     hidden_grid_dims
    .group_segment_fixed_size: 0
    .kernarg_segment_align: 8
    .kernarg_segment_size: 392
    .language:       OpenCL C
    .language_version:
      - 2
      - 0
    .max_flat_workgroup_size: 1024
    .name:           _ZN9rocsolver6v33100L16mfma_gemm_kernelIdiPKdPdS4_PKS4_EEv18rocblas_operation_S7_T0_S8_S8_T1_T2_lS8_S8_lT3_lS8_S8_lS9_T4_lS8_S8_l
    .private_segment_fixed_size: 0
    .sgpr_count:     44
    .sgpr_spill_count: 0
    .symbol:         _ZN9rocsolver6v33100L16mfma_gemm_kernelIdiPKdPdS4_PKS4_EEv18rocblas_operation_S7_T0_S8_S8_T1_T2_lS8_S8_lT3_lS8_S8_lS9_T4_lS8_S8_l.kd
    .uniform_work_group_size: 1
    .uses_dynamic_stack: false
    .vgpr_count:     34
    .vgpr_spill_count: 0
    .wavefront_size: 64
  - .agpr_count:     0
    .args:
      - .offset:         0
        .size:           4
        .value_kind:     by_value
      - .offset:         4
        .size:           4
        .value_kind:     by_value
      - .offset:         8
        .size:           4
        .value_kind:     by_value
      - .offset:         12
        .size:           4
        .value_kind:     by_value
      - .offset:         16
        .size:           4
        .value_kind:     by_value
      - .offset:         24
        .size:           8
        .value_kind:     by_value
      - .address_space:  global
        .offset:         32
        .size:           8
        .value_kind:     global_buffer
      - .offset:         40
        .size:           8
        .value_kind:     by_value
      - .offset:         48
        .size:           4
        .value_kind:     by_value
      - .offset:         52
        .size:           4
        .value_kind:     by_value
      - .offset:         56
        .size:           8
        .value_kind:     by_value
      - .address_space:  global
        .offset:         64
        .size:           8
        .value_kind:     global_buffer
      - .offset:         72
        .size:           8
        .value_kind:     by_value
      - .offset:         80
        .size:           4
        .value_kind:     by_value
      - .offset:         84
        .size:           4
        .value_kind:     by_value
      - .offset:         88
        .size:           8
        .value_kind:     by_value
      - .offset:         96
        .size:           8
        .value_kind:     by_value
      - .address_space:  global
        .offset:         104
        .size:           8
        .value_kind:     global_buffer
      - .offset:         112
        .size:           8
        .value_kind:     by_value
      - .offset:         120
        .size:           4
        .value_kind:     by_value
      - .offset:         124
        .size:           4
        .value_kind:     by_value
      - .offset:         128
        .size:           8
        .value_kind:     by_value
      - .offset:         136
        .size:           4
        .value_kind:     hidden_block_count_x
      - .offset:         140
        .size:           4
        .value_kind:     hidden_block_count_y
      - .offset:         144
        .size:           4
        .value_kind:     hidden_block_count_z
      - .offset:         148
        .size:           2
        .value_kind:     hidden_group_size_x
      - .offset:         150
        .size:           2
        .value_kind:     hidden_group_size_y
      - .offset:         152
        .size:           2
        .value_kind:     hidden_group_size_z
      - .offset:         154
        .size:           2
        .value_kind:     hidden_remainder_x
      - .offset:         156
        .size:           2
        .value_kind:     hidden_remainder_y
      - .offset:         158
        .size:           2
        .value_kind:     hidden_remainder_z
      - .offset:         176
        .size:           8
        .value_kind:     hidden_global_offset_x
      - .offset:         184
        .size:           8
        .value_kind:     hidden_global_offset_y
      - .offset:         192
        .size:           8
        .value_kind:     hidden_global_offset_z
      - .offset:         200
        .size:           2
        .value_kind:     hidden_grid_dims
    .group_segment_fixed_size: 0
    .kernarg_segment_align: 8
    .kernarg_segment_size: 392
    .language:       OpenCL C
    .language_version:
      - 2
      - 0
    .max_flat_workgroup_size: 1024
    .name:           _ZN9rocsolver6v33100L16mfma_gemm_kernelIdidPdS2_PKS2_EEv18rocblas_operation_S5_T0_S6_S6_T1_T2_lS6_S6_lT3_lS6_S6_lS7_T4_lS6_S6_l
    .private_segment_fixed_size: 0
    .sgpr_count:     44
    .sgpr_spill_count: 0
    .symbol:         _ZN9rocsolver6v33100L16mfma_gemm_kernelIdidPdS2_PKS2_EEv18rocblas_operation_S5_T0_S6_S6_T1_T2_lS6_S6_lT3_lS6_S6_lS7_T4_lS6_S6_l.kd
    .uniform_work_group_size: 1
    .uses_dynamic_stack: false
    .vgpr_count:     34
    .vgpr_spill_count: 0
    .wavefront_size: 64
  - .agpr_count:     0
    .args:
      - .offset:         0
        .size:           4
        .value_kind:     by_value
      - .offset:         4
        .size:           4
        .value_kind:     by_value
      - .offset:         8
        .size:           4
        .value_kind:     by_value
      - .address_space:  global
        .offset:         16
        .size:           8
        .value_kind:     global_buffer
      - .offset:         24
        .size:           1
        .value_kind:     by_value
      - .address_space:  global
        .offset:         32
        .size:           8
        .value_kind:     global_buffer
      - .offset:         40
        .size:           8
        .value_kind:     by_value
      - .offset:         48
        .size:           4
        .value_kind:     by_value
      - .offset:         52
        .size:           4
        .value_kind:     by_value
      - .offset:         56
        .size:           8
        .value_kind:     by_value
      - .offset:         64
        .size:           1
        .value_kind:     by_value
      - .address_space:  global
        .offset:         72
        .size:           8
        .value_kind:     global_buffer
      - .offset:         80
        .size:           8
        .value_kind:     by_value
      - .offset:         88
        .size:           4
        .value_kind:     by_value
      - .offset:         92
        .size:           4
        .value_kind:     by_value
      - .offset:         96
        .size:           8
        .value_kind:     by_value
      - .address_space:  global
        .offset:         104
        .size:           8
        .value_kind:     global_buffer
      - .address_space:  global
        .offset:         112
        .size:           8
        .value_kind:     global_buffer
      - .offset:         120
        .size:           8
        .value_kind:     by_value
      - .offset:         128
        .size:           4
        .value_kind:     by_value
      - .offset:         132
        .size:           4
        .value_kind:     by_value
      - .offset:         136
        .size:           8
        .value_kind:     by_value
      - .offset:         144
        .size:           4
        .value_kind:     hidden_block_count_x
      - .offset:         148
        .size:           4
        .value_kind:     hidden_block_count_y
      - .offset:         152
        .size:           4
        .value_kind:     hidden_block_count_z
      - .offset:         156
        .size:           2
        .value_kind:     hidden_group_size_x
      - .offset:         158
        .size:           2
        .value_kind:     hidden_group_size_y
      - .offset:         160
        .size:           2
        .value_kind:     hidden_group_size_z
      - .offset:         162
        .size:           2
        .value_kind:     hidden_remainder_x
      - .offset:         164
        .size:           2
        .value_kind:     hidden_remainder_y
      - .offset:         166
        .size:           2
        .value_kind:     hidden_remainder_z
      - .offset:         184
        .size:           8
        .value_kind:     hidden_global_offset_x
      - .offset:         192
        .size:           8
        .value_kind:     hidden_global_offset_y
      - .offset:         200
        .size:           8
        .value_kind:     hidden_global_offset_z
      - .offset:         208
        .size:           2
        .value_kind:     hidden_grid_dims
    .group_segment_fixed_size: 0
    .kernarg_segment_align: 8
    .kernarg_segment_size: 400
    .language:       OpenCL C
    .language_version:
      - 2
      - 0
    .max_flat_workgroup_size: 1024
    .name:           _ZN9rocsolver6v33100L11gemm_kernelIdiPKdPdS4_PKS4_EEvT0_S7_S7_T1_bT2_lS7_S7_lbT3_lS7_S7_lS8_T4_lS7_S7_l
    .private_segment_fixed_size: 0
    .sgpr_count:     36
    .sgpr_spill_count: 0
    .symbol:         _ZN9rocsolver6v33100L11gemm_kernelIdiPKdPdS4_PKS4_EEvT0_S7_S7_T1_bT2_lS7_S7_lbT3_lS7_S7_lS8_T4_lS7_S7_l.kd
    .uniform_work_group_size: 1
    .uses_dynamic_stack: false
    .vgpr_count:     14
    .vgpr_spill_count: 0
    .wavefront_size: 64
  - .agpr_count:     0
    .args:
      - .offset:         0
        .size:           4
        .value_kind:     by_value
      - .offset:         4
        .size:           4
        .value_kind:     by_value
      - .offset:         8
        .size:           4
        .value_kind:     by_value
      - .offset:         16
        .size:           8
        .value_kind:     by_value
      - .offset:         24
        .size:           1
        .value_kind:     by_value
      - .address_space:  global
        .offset:         32
        .size:           8
        .value_kind:     global_buffer
      - .offset:         40
        .size:           8
        .value_kind:     by_value
      - .offset:         48
        .size:           4
        .value_kind:     by_value
      - .offset:         52
        .size:           4
        .value_kind:     by_value
      - .offset:         56
        .size:           8
        .value_kind:     by_value
      - .offset:         64
        .size:           1
        .value_kind:     by_value
      - .address_space:  global
        .offset:         72
        .size:           8
        .value_kind:     global_buffer
      - .offset:         80
        .size:           8
        .value_kind:     by_value
      - .offset:         88
        .size:           4
        .value_kind:     by_value
      - .offset:         92
        .size:           4
        .value_kind:     by_value
      - .offset:         96
        .size:           8
        .value_kind:     by_value
      - .offset:         104
        .size:           8
        .value_kind:     by_value
      - .address_space:  global
        .offset:         112
        .size:           8
        .value_kind:     global_buffer
      - .offset:         120
        .size:           8
        .value_kind:     by_value
      - .offset:         128
        .size:           4
        .value_kind:     by_value
      - .offset:         132
        .size:           4
        .value_kind:     by_value
      - .offset:         136
        .size:           8
        .value_kind:     by_value
      - .offset:         144
        .size:           4
        .value_kind:     hidden_block_count_x
      - .offset:         148
        .size:           4
        .value_kind:     hidden_block_count_y
      - .offset:         152
        .size:           4
        .value_kind:     hidden_block_count_z
      - .offset:         156
        .size:           2
        .value_kind:     hidden_group_size_x
      - .offset:         158
        .size:           2
        .value_kind:     hidden_group_size_y
      - .offset:         160
        .size:           2
        .value_kind:     hidden_group_size_z
      - .offset:         162
        .size:           2
        .value_kind:     hidden_remainder_x
      - .offset:         164
        .size:           2
        .value_kind:     hidden_remainder_y
      - .offset:         166
        .size:           2
        .value_kind:     hidden_remainder_z
      - .offset:         184
        .size:           8
        .value_kind:     hidden_global_offset_x
      - .offset:         192
        .size:           8
        .value_kind:     hidden_global_offset_y
      - .offset:         200
        .size:           8
        .value_kind:     hidden_global_offset_z
      - .offset:         208
        .size:           2
        .value_kind:     hidden_grid_dims
    .group_segment_fixed_size: 0
    .kernarg_segment_align: 8
    .kernarg_segment_size: 400
    .language:       OpenCL C
    .language_version:
      - 2
      - 0
    .max_flat_workgroup_size: 1024
    .name:           _ZN9rocsolver6v33100L11gemm_kernelIdidPdS2_PKS2_EEvT0_S5_S5_T1_bT2_lS5_S5_lbT3_lS5_S5_lS6_T4_lS5_S5_l
    .private_segment_fixed_size: 0
    .sgpr_count:     36
    .sgpr_spill_count: 0
    .symbol:         _ZN9rocsolver6v33100L11gemm_kernelIdidPdS2_PKS2_EEvT0_S5_S5_T1_bT2_lS5_S5_lbT3_lS5_S5_lS6_T4_lS5_S5_l.kd
    .uniform_work_group_size: 1
    .uses_dynamic_stack: false
    .vgpr_count:     14
    .vgpr_spill_count: 0
    .wavefront_size: 64
  - .agpr_count:     0
    .args:
      - .offset:         0
        .size:           4
        .value_kind:     by_value
      - .offset:         4
        .size:           4
        .value_kind:     by_value
      - .offset:         8
        .size:           8
        .value_kind:     by_value
      - .offset:         16
        .size:           8
        .value_kind:     by_value
      - .offset:         24
        .size:           8
        .value_kind:     by_value
      - .address_space:  global
        .offset:         32
        .size:           8
        .value_kind:     global_buffer
      - .address_space:  global
        .offset:         40
        .size:           8
        .value_kind:     global_buffer
      - .offset:         48
        .size:           8
        .value_kind:     by_value
      - .offset:         56
        .size:           8
        .value_kind:     by_value
      - .offset:         64
        .size:           8
        .value_kind:     by_value
      - .offset:         72
        .size:           8
        .value_kind:     by_value
      - .address_space:  global
        .offset:         80
        .size:           8
        .value_kind:     global_buffer
      - .offset:         88
        .size:           8
        .value_kind:     by_value
      - .offset:         96
        .size:           8
        .value_kind:     by_value
      - .offset:         104
        .size:           8
        .value_kind:     by_value
      - .offset:         112
        .size:           8
        .value_kind:     by_value
      - .address_space:  global
        .offset:         120
        .size:           8
        .value_kind:     global_buffer
      - .address_space:  global
        .offset:         128
        .size:           8
        .value_kind:     global_buffer
      - .offset:         136
        .size:           8
        .value_kind:     by_value
      - .offset:         144
        .size:           8
        .value_kind:     by_value
      - .offset:         152
        .size:           8
        .value_kind:     by_value
      - .offset:         160
        .size:           8
        .value_kind:     by_value
      - .offset:         168
        .size:           4
        .value_kind:     hidden_block_count_x
      - .offset:         172
        .size:           4
        .value_kind:     hidden_block_count_y
      - .offset:         176
        .size:           4
        .value_kind:     hidden_block_count_z
      - .offset:         180
        .size:           2
        .value_kind:     hidden_group_size_x
      - .offset:         182
        .size:           2
        .value_kind:     hidden_group_size_y
      - .offset:         184
        .size:           2
        .value_kind:     hidden_group_size_z
      - .offset:         186
        .size:           2
        .value_kind:     hidden_remainder_x
      - .offset:         188
        .size:           2
        .value_kind:     hidden_remainder_y
      - .offset:         190
        .size:           2
        .value_kind:     hidden_remainder_z
      - .offset:         208
        .size:           8
        .value_kind:     hidden_global_offset_x
      - .offset:         216
        .size:           8
        .value_kind:     hidden_global_offset_y
      - .offset:         224
        .size:           8
        .value_kind:     hidden_global_offset_z
      - .offset:         232
        .size:           2
        .value_kind:     hidden_grid_dims
    .group_segment_fixed_size: 0
    .kernarg_segment_align: 8
    .kernarg_segment_size: 424
    .language:       OpenCL C
    .language_version:
      - 2
      - 0
    .max_flat_workgroup_size: 1024
    .name:           _ZN9rocsolver6v33100L16mfma_gemm_kernelIdlPKdPdS4_S4_EEv18rocblas_operation_S5_T0_S6_S6_T1_T2_lS6_S6_lT3_lS6_S6_lS7_T4_lS6_S6_l
    .private_segment_fixed_size: 0
    .sgpr_count:     56
    .sgpr_spill_count: 0
    .symbol:         _ZN9rocsolver6v33100L16mfma_gemm_kernelIdlPKdPdS4_S4_EEv18rocblas_operation_S5_T0_S6_S6_T1_T2_lS6_S6_lT3_lS6_S6_lS7_T4_lS6_S6_l.kd
    .uniform_work_group_size: 1
    .uses_dynamic_stack: false
    .vgpr_count:     37
    .vgpr_spill_count: 0
    .wavefront_size: 64
  - .agpr_count:     0
    .args:
      - .offset:         0
        .size:           4
        .value_kind:     by_value
      - .offset:         4
        .size:           4
        .value_kind:     by_value
      - .offset:         8
        .size:           8
        .value_kind:     by_value
      - .offset:         16
        .size:           8
        .value_kind:     by_value
      - .offset:         24
        .size:           8
        .value_kind:     by_value
      - .offset:         32
        .size:           8
        .value_kind:     by_value
      - .address_space:  global
        .offset:         40
        .size:           8
        .value_kind:     global_buffer
      - .offset:         48
        .size:           8
        .value_kind:     by_value
      - .offset:         56
        .size:           8
        .value_kind:     by_value
      - .offset:         64
        .size:           8
        .value_kind:     by_value
      - .offset:         72
        .size:           8
        .value_kind:     by_value
      - .address_space:  global
        .offset:         80
        .size:           8
        .value_kind:     global_buffer
      - .offset:         88
        .size:           8
        .value_kind:     by_value
      - .offset:         96
        .size:           8
        .value_kind:     by_value
      - .offset:         104
        .size:           8
        .value_kind:     by_value
      - .offset:         112
        .size:           8
        .value_kind:     by_value
      - .offset:         120
        .size:           8
        .value_kind:     by_value
      - .address_space:  global
        .offset:         128
        .size:           8
        .value_kind:     global_buffer
      - .offset:         136
        .size:           8
        .value_kind:     by_value
      - .offset:         144
        .size:           8
        .value_kind:     by_value
      - .offset:         152
        .size:           8
        .value_kind:     by_value
      - .offset:         160
        .size:           8
        .value_kind:     by_value
      - .offset:         168
        .size:           4
        .value_kind:     hidden_block_count_x
      - .offset:         172
        .size:           4
        .value_kind:     hidden_block_count_y
      - .offset:         176
        .size:           4
        .value_kind:     hidden_block_count_z
      - .offset:         180
        .size:           2
        .value_kind:     hidden_group_size_x
      - .offset:         182
        .size:           2
        .value_kind:     hidden_group_size_y
      - .offset:         184
        .size:           2
        .value_kind:     hidden_group_size_z
      - .offset:         186
        .size:           2
        .value_kind:     hidden_remainder_x
      - .offset:         188
        .size:           2
        .value_kind:     hidden_remainder_y
      - .offset:         190
        .size:           2
        .value_kind:     hidden_remainder_z
      - .offset:         208
        .size:           8
        .value_kind:     hidden_global_offset_x
      - .offset:         216
        .size:           8
        .value_kind:     hidden_global_offset_y
      - .offset:         224
        .size:           8
        .value_kind:     hidden_global_offset_z
      - .offset:         232
        .size:           2
        .value_kind:     hidden_grid_dims
    .group_segment_fixed_size: 0
    .kernarg_segment_align: 8
    .kernarg_segment_size: 424
    .language:       OpenCL C
    .language_version:
      - 2
      - 0
    .max_flat_workgroup_size: 1024
    .name:           _ZN9rocsolver6v33100L16mfma_gemm_kernelIdldPdS2_S2_EEv18rocblas_operation_S3_T0_S4_S4_T1_T2_lS4_S4_lT3_lS4_S4_lS5_T4_lS4_S4_l
    .private_segment_fixed_size: 0
    .sgpr_count:     56
    .sgpr_spill_count: 0
    .symbol:         _ZN9rocsolver6v33100L16mfma_gemm_kernelIdldPdS2_S2_EEv18rocblas_operation_S3_T0_S4_S4_T1_T2_lS4_S4_lT3_lS4_S4_lS5_T4_lS4_S4_l.kd
    .uniform_work_group_size: 1
    .uses_dynamic_stack: false
    .vgpr_count:     37
    .vgpr_spill_count: 0
    .wavefront_size: 64
  - .agpr_count:     0
    .args:
      - .offset:         0
        .size:           8
        .value_kind:     by_value
      - .offset:         8
        .size:           8
        .value_kind:     by_value
      - .offset:         16
        .size:           8
        .value_kind:     by_value
      - .address_space:  global
        .offset:         24
        .size:           8
        .value_kind:     global_buffer
      - .offset:         32
        .size:           1
        .value_kind:     by_value
      - .address_space:  global
        .offset:         40
        .size:           8
        .value_kind:     global_buffer
      - .offset:         48
        .size:           8
        .value_kind:     by_value
      - .offset:         56
        .size:           8
        .value_kind:     by_value
      - .offset:         64
        .size:           8
        .value_kind:     by_value
      - .offset:         72
        .size:           8
        .value_kind:     by_value
      - .offset:         80
        .size:           1
        .value_kind:     by_value
      - .address_space:  global
        .offset:         88
        .size:           8
        .value_kind:     global_buffer
      - .offset:         96
        .size:           8
        .value_kind:     by_value
      - .offset:         104
        .size:           8
        .value_kind:     by_value
      - .offset:         112
        .size:           8
        .value_kind:     by_value
      - .offset:         120
        .size:           8
        .value_kind:     by_value
      - .address_space:  global
        .offset:         128
        .size:           8
        .value_kind:     global_buffer
      - .address_space:  global
        .offset:         136
        .size:           8
        .value_kind:     global_buffer
      - .offset:         144
        .size:           8
        .value_kind:     by_value
      - .offset:         152
        .size:           8
        .value_kind:     by_value
      - .offset:         160
        .size:           8
        .value_kind:     by_value
      - .offset:         168
        .size:           8
        .value_kind:     by_value
      - .offset:         176
        .size:           4
        .value_kind:     hidden_block_count_x
      - .offset:         180
        .size:           4
        .value_kind:     hidden_block_count_y
      - .offset:         184
        .size:           4
        .value_kind:     hidden_block_count_z
      - .offset:         188
        .size:           2
        .value_kind:     hidden_group_size_x
      - .offset:         190
        .size:           2
        .value_kind:     hidden_group_size_y
      - .offset:         192
        .size:           2
        .value_kind:     hidden_group_size_z
      - .offset:         194
        .size:           2
        .value_kind:     hidden_remainder_x
      - .offset:         196
        .size:           2
        .value_kind:     hidden_remainder_y
      - .offset:         198
        .size:           2
        .value_kind:     hidden_remainder_z
      - .offset:         216
        .size:           8
        .value_kind:     hidden_global_offset_x
      - .offset:         224
        .size:           8
        .value_kind:     hidden_global_offset_y
      - .offset:         232
        .size:           8
        .value_kind:     hidden_global_offset_z
      - .offset:         240
        .size:           2
        .value_kind:     hidden_grid_dims
    .group_segment_fixed_size: 0
    .kernarg_segment_align: 8
    .kernarg_segment_size: 432
    .language:       OpenCL C
    .language_version:
      - 2
      - 0
    .max_flat_workgroup_size: 1024
    .name:           _ZN9rocsolver6v33100L11gemm_kernelIdlPKdPdS4_S4_EEvT0_S5_S5_T1_bT2_lS5_S5_lbT3_lS5_S5_lS6_T4_lS5_S5_l
    .private_segment_fixed_size: 0
    .sgpr_count:     48
    .sgpr_spill_count: 0
    .symbol:         _ZN9rocsolver6v33100L11gemm_kernelIdlPKdPdS4_S4_EEvT0_S5_S5_T1_bT2_lS5_S5_lbT3_lS5_S5_lS6_T4_lS5_S5_l.kd
    .uniform_work_group_size: 1
    .uses_dynamic_stack: false
    .vgpr_count:     16
    .vgpr_spill_count: 0
    .wavefront_size: 64
  - .agpr_count:     0
    .args:
      - .offset:         0
        .size:           8
        .value_kind:     by_value
      - .offset:         8
        .size:           8
        .value_kind:     by_value
      - .offset:         16
        .size:           8
        .value_kind:     by_value
      - .offset:         24
        .size:           8
        .value_kind:     by_value
      - .offset:         32
        .size:           1
        .value_kind:     by_value
      - .address_space:  global
        .offset:         40
        .size:           8
        .value_kind:     global_buffer
      - .offset:         48
        .size:           8
        .value_kind:     by_value
      - .offset:         56
        .size:           8
        .value_kind:     by_value
      - .offset:         64
        .size:           8
        .value_kind:     by_value
      - .offset:         72
        .size:           8
        .value_kind:     by_value
      - .offset:         80
        .size:           1
        .value_kind:     by_value
      - .address_space:  global
        .offset:         88
        .size:           8
        .value_kind:     global_buffer
      - .offset:         96
        .size:           8
        .value_kind:     by_value
      - .offset:         104
        .size:           8
        .value_kind:     by_value
      - .offset:         112
        .size:           8
        .value_kind:     by_value
      - .offset:         120
        .size:           8
        .value_kind:     by_value
      - .offset:         128
        .size:           8
        .value_kind:     by_value
      - .address_space:  global
        .offset:         136
        .size:           8
        .value_kind:     global_buffer
      - .offset:         144
        .size:           8
        .value_kind:     by_value
      - .offset:         152
        .size:           8
        .value_kind:     by_value
      - .offset:         160
        .size:           8
        .value_kind:     by_value
      - .offset:         168
        .size:           8
        .value_kind:     by_value
      - .offset:         176
        .size:           4
        .value_kind:     hidden_block_count_x
      - .offset:         180
        .size:           4
        .value_kind:     hidden_block_count_y
      - .offset:         184
        .size:           4
        .value_kind:     hidden_block_count_z
      - .offset:         188
        .size:           2
        .value_kind:     hidden_group_size_x
      - .offset:         190
        .size:           2
        .value_kind:     hidden_group_size_y
      - .offset:         192
        .size:           2
        .value_kind:     hidden_group_size_z
      - .offset:         194
        .size:           2
        .value_kind:     hidden_remainder_x
      - .offset:         196
        .size:           2
        .value_kind:     hidden_remainder_y
      - .offset:         198
        .size:           2
        .value_kind:     hidden_remainder_z
      - .offset:         216
        .size:           8
        .value_kind:     hidden_global_offset_x
      - .offset:         224
        .size:           8
        .value_kind:     hidden_global_offset_y
      - .offset:         232
        .size:           8
        .value_kind:     hidden_global_offset_z
      - .offset:         240
        .size:           2
        .value_kind:     hidden_grid_dims
    .group_segment_fixed_size: 0
    .kernarg_segment_align: 8
    .kernarg_segment_size: 432
    .language:       OpenCL C
    .language_version:
      - 2
      - 0
    .max_flat_workgroup_size: 1024
    .name:           _ZN9rocsolver6v33100L11gemm_kernelIdldPdS2_S2_EEvT0_S3_S3_T1_bT2_lS3_S3_lbT3_lS3_S3_lS4_T4_lS3_S3_l
    .private_segment_fixed_size: 0
    .sgpr_count:     48
    .sgpr_spill_count: 0
    .symbol:         _ZN9rocsolver6v33100L11gemm_kernelIdldPdS2_S2_EEvT0_S3_S3_T1_bT2_lS3_S3_lbT3_lS3_S3_lS4_T4_lS3_S3_l.kd
    .uniform_work_group_size: 1
    .uses_dynamic_stack: false
    .vgpr_count:     16
    .vgpr_spill_count: 0
    .wavefront_size: 64
  - .agpr_count:     0
    .args:
      - .offset:         0
        .size:           4
        .value_kind:     by_value
      - .offset:         4
        .size:           4
        .value_kind:     by_value
      - .offset:         8
        .size:           8
        .value_kind:     by_value
      - .offset:         16
        .size:           8
        .value_kind:     by_value
      - .offset:         24
        .size:           8
        .value_kind:     by_value
      - .address_space:  global
        .offset:         32
        .size:           8
        .value_kind:     global_buffer
      - .address_space:  global
        .offset:         40
        .size:           8
        .value_kind:     global_buffer
      - .offset:         48
        .size:           8
        .value_kind:     by_value
      - .offset:         56
        .size:           8
        .value_kind:     by_value
      - .offset:         64
        .size:           8
        .value_kind:     by_value
      - .offset:         72
        .size:           8
        .value_kind:     by_value
      - .address_space:  global
        .offset:         80
        .size:           8
        .value_kind:     global_buffer
      - .offset:         88
        .size:           8
        .value_kind:     by_value
      - .offset:         96
        .size:           8
        .value_kind:     by_value
      - .offset:         104
        .size:           8
        .value_kind:     by_value
      - .offset:         112
        .size:           8
        .value_kind:     by_value
      - .address_space:  global
        .offset:         120
        .size:           8
        .value_kind:     global_buffer
      - .address_space:  global
        .offset:         128
        .size:           8
        .value_kind:     global_buffer
      - .offset:         136
        .size:           8
        .value_kind:     by_value
      - .offset:         144
        .size:           8
        .value_kind:     by_value
      - .offset:         152
        .size:           8
        .value_kind:     by_value
      - .offset:         160
        .size:           8
        .value_kind:     by_value
      - .offset:         168
        .size:           4
        .value_kind:     hidden_block_count_x
      - .offset:         172
        .size:           4
        .value_kind:     hidden_block_count_y
      - .offset:         176
        .size:           4
        .value_kind:     hidden_block_count_z
      - .offset:         180
        .size:           2
        .value_kind:     hidden_group_size_x
      - .offset:         182
        .size:           2
        .value_kind:     hidden_group_size_y
      - .offset:         184
        .size:           2
        .value_kind:     hidden_group_size_z
      - .offset:         186
        .size:           2
        .value_kind:     hidden_remainder_x
      - .offset:         188
        .size:           2
        .value_kind:     hidden_remainder_y
      - .offset:         190
        .size:           2
        .value_kind:     hidden_remainder_z
      - .offset:         208
        .size:           8
        .value_kind:     hidden_global_offset_x
      - .offset:         216
        .size:           8
        .value_kind:     hidden_global_offset_y
      - .offset:         224
        .size:           8
        .value_kind:     hidden_global_offset_z
      - .offset:         232
        .size:           2
        .value_kind:     hidden_grid_dims
    .group_segment_fixed_size: 0
    .kernarg_segment_align: 8
    .kernarg_segment_size: 424
    .language:       OpenCL C
    .language_version:
      - 2
      - 0
    .max_flat_workgroup_size: 1024
    .name:           _ZN9rocsolver6v33100L16mfma_gemm_kernelIdlPKdPKPdS6_S6_EEv18rocblas_operation_S7_T0_S8_S8_T1_T2_lS8_S8_lT3_lS8_S8_lS9_T4_lS8_S8_l
    .private_segment_fixed_size: 0
    .sgpr_count:     51
    .sgpr_spill_count: 0
    .symbol:         _ZN9rocsolver6v33100L16mfma_gemm_kernelIdlPKdPKPdS6_S6_EEv18rocblas_operation_S7_T0_S8_S8_T1_T2_lS8_S8_lT3_lS8_S8_lS9_T4_lS8_S8_l.kd
    .uniform_work_group_size: 1
    .uses_dynamic_stack: false
    .vgpr_count:     37
    .vgpr_spill_count: 0
    .wavefront_size: 64
  - .agpr_count:     0
    .args:
      - .offset:         0
        .size:           4
        .value_kind:     by_value
      - .offset:         4
        .size:           4
        .value_kind:     by_value
      - .offset:         8
        .size:           8
        .value_kind:     by_value
      - .offset:         16
        .size:           8
        .value_kind:     by_value
      - .offset:         24
        .size:           8
        .value_kind:     by_value
      - .offset:         32
        .size:           8
        .value_kind:     by_value
      - .address_space:  global
        .offset:         40
        .size:           8
        .value_kind:     global_buffer
      - .offset:         48
        .size:           8
        .value_kind:     by_value
      - .offset:         56
        .size:           8
        .value_kind:     by_value
      - .offset:         64
        .size:           8
        .value_kind:     by_value
      - .offset:         72
        .size:           8
        .value_kind:     by_value
      - .address_space:  global
        .offset:         80
        .size:           8
        .value_kind:     global_buffer
      - .offset:         88
        .size:           8
        .value_kind:     by_value
      - .offset:         96
        .size:           8
        .value_kind:     by_value
      - .offset:         104
        .size:           8
        .value_kind:     by_value
      - .offset:         112
        .size:           8
        .value_kind:     by_value
      - .offset:         120
        .size:           8
        .value_kind:     by_value
      - .address_space:  global
        .offset:         128
        .size:           8
        .value_kind:     global_buffer
      - .offset:         136
        .size:           8
        .value_kind:     by_value
      - .offset:         144
        .size:           8
        .value_kind:     by_value
      - .offset:         152
        .size:           8
        .value_kind:     by_value
      - .offset:         160
        .size:           8
        .value_kind:     by_value
      - .offset:         168
        .size:           4
        .value_kind:     hidden_block_count_x
      - .offset:         172
        .size:           4
        .value_kind:     hidden_block_count_y
      - .offset:         176
        .size:           4
        .value_kind:     hidden_block_count_z
      - .offset:         180
        .size:           2
        .value_kind:     hidden_group_size_x
      - .offset:         182
        .size:           2
        .value_kind:     hidden_group_size_y
      - .offset:         184
        .size:           2
        .value_kind:     hidden_group_size_z
      - .offset:         186
        .size:           2
        .value_kind:     hidden_remainder_x
      - .offset:         188
        .size:           2
        .value_kind:     hidden_remainder_y
      - .offset:         190
        .size:           2
        .value_kind:     hidden_remainder_z
      - .offset:         208
        .size:           8
        .value_kind:     hidden_global_offset_x
      - .offset:         216
        .size:           8
        .value_kind:     hidden_global_offset_y
      - .offset:         224
        .size:           8
        .value_kind:     hidden_global_offset_z
      - .offset:         232
        .size:           2
        .value_kind:     hidden_grid_dims
    .group_segment_fixed_size: 0
    .kernarg_segment_align: 8
    .kernarg_segment_size: 424
    .language:       OpenCL C
    .language_version:
      - 2
      - 0
    .max_flat_workgroup_size: 1024
    .name:           _ZN9rocsolver6v33100L16mfma_gemm_kernelIdldPKPdS4_S4_EEv18rocblas_operation_S5_T0_S6_S6_T1_T2_lS6_S6_lT3_lS6_S6_lS7_T4_lS6_S6_l
    .private_segment_fixed_size: 0
    .sgpr_count:     51
    .sgpr_spill_count: 0
    .symbol:         _ZN9rocsolver6v33100L16mfma_gemm_kernelIdldPKPdS4_S4_EEv18rocblas_operation_S5_T0_S6_S6_T1_T2_lS6_S6_lT3_lS6_S6_lS7_T4_lS6_S6_l.kd
    .uniform_work_group_size: 1
    .uses_dynamic_stack: false
    .vgpr_count:     37
    .vgpr_spill_count: 0
    .wavefront_size: 64
  - .agpr_count:     0
    .args:
      - .offset:         0
        .size:           8
        .value_kind:     by_value
      - .offset:         8
        .size:           8
        .value_kind:     by_value
      - .offset:         16
        .size:           8
        .value_kind:     by_value
      - .address_space:  global
        .offset:         24
        .size:           8
        .value_kind:     global_buffer
      - .offset:         32
        .size:           1
        .value_kind:     by_value
      - .address_space:  global
        .offset:         40
        .size:           8
        .value_kind:     global_buffer
      - .offset:         48
        .size:           8
        .value_kind:     by_value
      - .offset:         56
        .size:           8
        .value_kind:     by_value
      - .offset:         64
        .size:           8
        .value_kind:     by_value
      - .offset:         72
        .size:           8
        .value_kind:     by_value
      - .offset:         80
        .size:           1
        .value_kind:     by_value
      - .address_space:  global
        .offset:         88
        .size:           8
        .value_kind:     global_buffer
      - .offset:         96
        .size:           8
        .value_kind:     by_value
      - .offset:         104
        .size:           8
        .value_kind:     by_value
      - .offset:         112
        .size:           8
        .value_kind:     by_value
      - .offset:         120
        .size:           8
        .value_kind:     by_value
      - .address_space:  global
        .offset:         128
        .size:           8
        .value_kind:     global_buffer
      - .address_space:  global
        .offset:         136
        .size:           8
        .value_kind:     global_buffer
      - .offset:         144
        .size:           8
        .value_kind:     by_value
      - .offset:         152
        .size:           8
        .value_kind:     by_value
      - .offset:         160
        .size:           8
        .value_kind:     by_value
      - .offset:         168
        .size:           8
        .value_kind:     by_value
      - .offset:         176
        .size:           4
        .value_kind:     hidden_block_count_x
      - .offset:         180
        .size:           4
        .value_kind:     hidden_block_count_y
      - .offset:         184
        .size:           4
        .value_kind:     hidden_block_count_z
      - .offset:         188
        .size:           2
        .value_kind:     hidden_group_size_x
      - .offset:         190
        .size:           2
        .value_kind:     hidden_group_size_y
      - .offset:         192
        .size:           2
        .value_kind:     hidden_group_size_z
      - .offset:         194
        .size:           2
        .value_kind:     hidden_remainder_x
      - .offset:         196
        .size:           2
        .value_kind:     hidden_remainder_y
      - .offset:         198
        .size:           2
        .value_kind:     hidden_remainder_z
      - .offset:         216
        .size:           8
        .value_kind:     hidden_global_offset_x
      - .offset:         224
        .size:           8
        .value_kind:     hidden_global_offset_y
      - .offset:         232
        .size:           8
        .value_kind:     hidden_global_offset_z
      - .offset:         240
        .size:           2
        .value_kind:     hidden_grid_dims
    .group_segment_fixed_size: 0
    .kernarg_segment_align: 8
    .kernarg_segment_size: 432
    .language:       OpenCL C
    .language_version:
      - 2
      - 0
    .max_flat_workgroup_size: 1024
    .name:           _ZN9rocsolver6v33100L11gemm_kernelIdlPKdPKPdS6_S6_EEvT0_S7_S7_T1_bT2_lS7_S7_lbT3_lS7_S7_lS8_T4_lS7_S7_l
    .private_segment_fixed_size: 0
    .sgpr_count:     48
    .sgpr_spill_count: 0
    .symbol:         _ZN9rocsolver6v33100L11gemm_kernelIdlPKdPKPdS6_S6_EEvT0_S7_S7_T1_bT2_lS7_S7_lbT3_lS7_S7_lS8_T4_lS7_S7_l.kd
    .uniform_work_group_size: 1
    .uses_dynamic_stack: false
    .vgpr_count:     16
    .vgpr_spill_count: 0
    .wavefront_size: 64
  - .agpr_count:     0
    .args:
      - .offset:         0
        .size:           8
        .value_kind:     by_value
      - .offset:         8
        .size:           8
        .value_kind:     by_value
      - .offset:         16
        .size:           8
        .value_kind:     by_value
      - .offset:         24
        .size:           8
        .value_kind:     by_value
      - .offset:         32
        .size:           1
        .value_kind:     by_value
      - .address_space:  global
        .offset:         40
        .size:           8
        .value_kind:     global_buffer
      - .offset:         48
        .size:           8
        .value_kind:     by_value
      - .offset:         56
        .size:           8
        .value_kind:     by_value
      - .offset:         64
        .size:           8
        .value_kind:     by_value
      - .offset:         72
        .size:           8
        .value_kind:     by_value
      - .offset:         80
        .size:           1
        .value_kind:     by_value
      - .address_space:  global
        .offset:         88
        .size:           8
        .value_kind:     global_buffer
      - .offset:         96
        .size:           8
        .value_kind:     by_value
      - .offset:         104
        .size:           8
        .value_kind:     by_value
      - .offset:         112
        .size:           8
        .value_kind:     by_value
      - .offset:         120
        .size:           8
        .value_kind:     by_value
      - .offset:         128
        .size:           8
        .value_kind:     by_value
      - .address_space:  global
        .offset:         136
        .size:           8
        .value_kind:     global_buffer
      - .offset:         144
        .size:           8
        .value_kind:     by_value
      - .offset:         152
        .size:           8
        .value_kind:     by_value
      - .offset:         160
        .size:           8
        .value_kind:     by_value
      - .offset:         168
        .size:           8
        .value_kind:     by_value
      - .offset:         176
        .size:           4
        .value_kind:     hidden_block_count_x
      - .offset:         180
        .size:           4
        .value_kind:     hidden_block_count_y
      - .offset:         184
        .size:           4
        .value_kind:     hidden_block_count_z
      - .offset:         188
        .size:           2
        .value_kind:     hidden_group_size_x
      - .offset:         190
        .size:           2
        .value_kind:     hidden_group_size_y
      - .offset:         192
        .size:           2
        .value_kind:     hidden_group_size_z
      - .offset:         194
        .size:           2
        .value_kind:     hidden_remainder_x
      - .offset:         196
        .size:           2
        .value_kind:     hidden_remainder_y
      - .offset:         198
        .size:           2
        .value_kind:     hidden_remainder_z
      - .offset:         216
        .size:           8
        .value_kind:     hidden_global_offset_x
      - .offset:         224
        .size:           8
        .value_kind:     hidden_global_offset_y
      - .offset:         232
        .size:           8
        .value_kind:     hidden_global_offset_z
      - .offset:         240
        .size:           2
        .value_kind:     hidden_grid_dims
    .group_segment_fixed_size: 0
    .kernarg_segment_align: 8
    .kernarg_segment_size: 432
    .language:       OpenCL C
    .language_version:
      - 2
      - 0
    .max_flat_workgroup_size: 1024
    .name:           _ZN9rocsolver6v33100L11gemm_kernelIdldPKPdS4_S4_EEvT0_S5_S5_T1_bT2_lS5_S5_lbT3_lS5_S5_lS6_T4_lS5_S5_l
    .private_segment_fixed_size: 0
    .sgpr_count:     48
    .sgpr_spill_count: 0
    .symbol:         _ZN9rocsolver6v33100L11gemm_kernelIdldPKPdS4_S4_EEvT0_S5_S5_T1_bT2_lS5_S5_lbT3_lS5_S5_lS6_T4_lS5_S5_l.kd
    .uniform_work_group_size: 1
    .uses_dynamic_stack: false
    .vgpr_count:     16
    .vgpr_spill_count: 0
    .wavefront_size: 64
  - .agpr_count:     0
    .args:
      - .address_space:  global
        .offset:         0
        .size:           8
        .value_kind:     global_buffer
      - .address_space:  global
        .offset:         8
        .size:           8
        .value_kind:     global_buffer
      - .offset:         16
        .size:           8
        .value_kind:     by_value
      - .offset:         24
        .size:           8
        .value_kind:     by_value
      - .offset:         32
        .size:           4
        .value_kind:     hidden_block_count_x
      - .offset:         36
        .size:           4
        .value_kind:     hidden_block_count_y
      - .offset:         40
        .size:           4
        .value_kind:     hidden_block_count_z
      - .offset:         44
        .size:           2
        .value_kind:     hidden_group_size_x
      - .offset:         46
        .size:           2
        .value_kind:     hidden_group_size_y
      - .offset:         48
        .size:           2
        .value_kind:     hidden_group_size_z
      - .offset:         50
        .size:           2
        .value_kind:     hidden_remainder_x
      - .offset:         52
        .size:           2
        .value_kind:     hidden_remainder_y
      - .offset:         54
        .size:           2
        .value_kind:     hidden_remainder_z
      - .offset:         72
        .size:           8
        .value_kind:     hidden_global_offset_x
      - .offset:         80
        .size:           8
        .value_kind:     hidden_global_offset_y
      - .offset:         88
        .size:           8
        .value_kind:     hidden_global_offset_z
      - .offset:         96
        .size:           2
        .value_kind:     hidden_grid_dims
    .group_segment_fixed_size: 0
    .kernarg_segment_align: 8
    .kernarg_segment_size: 288
    .language:       OpenCL C
    .language_version:
      - 2
      - 0
    .max_flat_workgroup_size: 1024
    .name:           _ZN9rocsolver6v33100L9get_arrayIdlEEvPPT_S3_lT0_
    .private_segment_fixed_size: 0
    .sgpr_count:     20
    .sgpr_spill_count: 0
    .symbol:         _ZN9rocsolver6v33100L9get_arrayIdlEEvPPT_S3_lT0_.kd
    .uniform_work_group_size: 1
    .uses_dynamic_stack: false
    .vgpr_count:     6
    .vgpr_spill_count: 0
    .wavefront_size: 64
  - .agpr_count:     0
    .args:
      - .offset:         0
        .size:           4
        .value_kind:     by_value
      - .offset:         4
        .size:           4
        .value_kind:     by_value
      - .offset:         8
        .size:           8
        .value_kind:     by_value
      - .offset:         16
        .size:           8
        .value_kind:     by_value
      - .offset:         24
        .size:           8
        .value_kind:     by_value
      - .address_space:  global
        .offset:         32
        .size:           8
        .value_kind:     global_buffer
      - .address_space:  global
        .offset:         40
        .size:           8
        .value_kind:     global_buffer
      - .offset:         48
        .size:           8
        .value_kind:     by_value
      - .offset:         56
        .size:           8
        .value_kind:     by_value
      - .offset:         64
        .size:           8
        .value_kind:     by_value
      - .offset:         72
        .size:           8
        .value_kind:     by_value
      - .address_space:  global
        .offset:         80
        .size:           8
        .value_kind:     global_buffer
      - .offset:         88
        .size:           8
        .value_kind:     by_value
      - .offset:         96
        .size:           8
        .value_kind:     by_value
      - .offset:         104
        .size:           8
        .value_kind:     by_value
      - .offset:         112
        .size:           8
        .value_kind:     by_value
      - .address_space:  global
        .offset:         120
        .size:           8
        .value_kind:     global_buffer
      - .address_space:  global
        .offset:         128
        .size:           8
        .value_kind:     global_buffer
      - .offset:         136
        .size:           8
        .value_kind:     by_value
      - .offset:         144
        .size:           8
        .value_kind:     by_value
      - .offset:         152
        .size:           8
        .value_kind:     by_value
      - .offset:         160
        .size:           8
        .value_kind:     by_value
      - .offset:         168
        .size:           4
        .value_kind:     hidden_block_count_x
      - .offset:         172
        .size:           4
        .value_kind:     hidden_block_count_y
      - .offset:         176
        .size:           4
        .value_kind:     hidden_block_count_z
      - .offset:         180
        .size:           2
        .value_kind:     hidden_group_size_x
      - .offset:         182
        .size:           2
        .value_kind:     hidden_group_size_y
      - .offset:         184
        .size:           2
        .value_kind:     hidden_group_size_z
      - .offset:         186
        .size:           2
        .value_kind:     hidden_remainder_x
      - .offset:         188
        .size:           2
        .value_kind:     hidden_remainder_y
      - .offset:         190
        .size:           2
        .value_kind:     hidden_remainder_z
      - .offset:         208
        .size:           8
        .value_kind:     hidden_global_offset_x
      - .offset:         216
        .size:           8
        .value_kind:     hidden_global_offset_y
      - .offset:         224
        .size:           8
        .value_kind:     hidden_global_offset_z
      - .offset:         232
        .size:           2
        .value_kind:     hidden_grid_dims
    .group_segment_fixed_size: 0
    .kernarg_segment_align: 8
    .kernarg_segment_size: 424
    .language:       OpenCL C
    .language_version:
      - 2
      - 0
    .max_flat_workgroup_size: 1024
    .name:           _ZN9rocsolver6v33100L16mfma_gemm_kernelIdlPKdPdPKS4_S6_EEv18rocblas_operation_S7_T0_S8_S8_T1_T2_lS8_S8_lT3_lS8_S8_lS9_T4_lS8_S8_l
    .private_segment_fixed_size: 0
    .sgpr_count:     56
    .sgpr_spill_count: 0
    .symbol:         _ZN9rocsolver6v33100L16mfma_gemm_kernelIdlPKdPdPKS4_S6_EEv18rocblas_operation_S7_T0_S8_S8_T1_T2_lS8_S8_lT3_lS8_S8_lS9_T4_lS8_S8_l.kd
    .uniform_work_group_size: 1
    .uses_dynamic_stack: false
    .vgpr_count:     37
    .vgpr_spill_count: 0
    .wavefront_size: 64
  - .agpr_count:     0
    .args:
      - .offset:         0
        .size:           4
        .value_kind:     by_value
      - .offset:         4
        .size:           4
        .value_kind:     by_value
      - .offset:         8
        .size:           8
        .value_kind:     by_value
      - .offset:         16
        .size:           8
        .value_kind:     by_value
      - .offset:         24
        .size:           8
        .value_kind:     by_value
      - .offset:         32
        .size:           8
        .value_kind:     by_value
      - .address_space:  global
        .offset:         40
        .size:           8
        .value_kind:     global_buffer
      - .offset:         48
        .size:           8
        .value_kind:     by_value
      - .offset:         56
        .size:           8
        .value_kind:     by_value
      - .offset:         64
        .size:           8
        .value_kind:     by_value
      - .offset:         72
        .size:           8
        .value_kind:     by_value
      - .address_space:  global
        .offset:         80
        .size:           8
        .value_kind:     global_buffer
      - .offset:         88
        .size:           8
        .value_kind:     by_value
      - .offset:         96
        .size:           8
        .value_kind:     by_value
      - .offset:         104
        .size:           8
        .value_kind:     by_value
      - .offset:         112
        .size:           8
        .value_kind:     by_value
      - .offset:         120
        .size:           8
        .value_kind:     by_value
      - .address_space:  global
        .offset:         128
        .size:           8
        .value_kind:     global_buffer
      - .offset:         136
        .size:           8
        .value_kind:     by_value
      - .offset:         144
        .size:           8
        .value_kind:     by_value
      - .offset:         152
        .size:           8
        .value_kind:     by_value
      - .offset:         160
        .size:           8
        .value_kind:     by_value
      - .offset:         168
        .size:           4
        .value_kind:     hidden_block_count_x
      - .offset:         172
        .size:           4
        .value_kind:     hidden_block_count_y
      - .offset:         176
        .size:           4
        .value_kind:     hidden_block_count_z
      - .offset:         180
        .size:           2
        .value_kind:     hidden_group_size_x
      - .offset:         182
        .size:           2
        .value_kind:     hidden_group_size_y
      - .offset:         184
        .size:           2
        .value_kind:     hidden_group_size_z
      - .offset:         186
        .size:           2
        .value_kind:     hidden_remainder_x
      - .offset:         188
        .size:           2
        .value_kind:     hidden_remainder_y
      - .offset:         190
        .size:           2
        .value_kind:     hidden_remainder_z
      - .offset:         208
        .size:           8
        .value_kind:     hidden_global_offset_x
      - .offset:         216
        .size:           8
        .value_kind:     hidden_global_offset_y
      - .offset:         224
        .size:           8
        .value_kind:     hidden_global_offset_z
      - .offset:         232
        .size:           2
        .value_kind:     hidden_grid_dims
    .group_segment_fixed_size: 0
    .kernarg_segment_align: 8
    .kernarg_segment_size: 424
    .language:       OpenCL C
    .language_version:
      - 2
      - 0
    .max_flat_workgroup_size: 1024
    .name:           _ZN9rocsolver6v33100L16mfma_gemm_kernelIdldPdPKS2_S4_EEv18rocblas_operation_S5_T0_S6_S6_T1_T2_lS6_S6_lT3_lS6_S6_lS7_T4_lS6_S6_l
    .private_segment_fixed_size: 0
    .sgpr_count:     56
    .sgpr_spill_count: 0
    .symbol:         _ZN9rocsolver6v33100L16mfma_gemm_kernelIdldPdPKS2_S4_EEv18rocblas_operation_S5_T0_S6_S6_T1_T2_lS6_S6_lT3_lS6_S6_lS7_T4_lS6_S6_l.kd
    .uniform_work_group_size: 1
    .uses_dynamic_stack: false
    .vgpr_count:     37
    .vgpr_spill_count: 0
    .wavefront_size: 64
  - .agpr_count:     0
    .args:
      - .offset:         0
        .size:           8
        .value_kind:     by_value
      - .offset:         8
        .size:           8
        .value_kind:     by_value
      - .offset:         16
        .size:           8
        .value_kind:     by_value
      - .address_space:  global
        .offset:         24
        .size:           8
        .value_kind:     global_buffer
      - .offset:         32
        .size:           1
        .value_kind:     by_value
      - .address_space:  global
        .offset:         40
        .size:           8
        .value_kind:     global_buffer
      - .offset:         48
        .size:           8
        .value_kind:     by_value
      - .offset:         56
        .size:           8
        .value_kind:     by_value
      - .offset:         64
        .size:           8
        .value_kind:     by_value
      - .offset:         72
        .size:           8
        .value_kind:     by_value
      - .offset:         80
        .size:           1
        .value_kind:     by_value
      - .address_space:  global
        .offset:         88
        .size:           8
        .value_kind:     global_buffer
      - .offset:         96
        .size:           8
        .value_kind:     by_value
      - .offset:         104
        .size:           8
        .value_kind:     by_value
      - .offset:         112
        .size:           8
        .value_kind:     by_value
      - .offset:         120
        .size:           8
        .value_kind:     by_value
      - .address_space:  global
        .offset:         128
        .size:           8
        .value_kind:     global_buffer
      - .address_space:  global
        .offset:         136
        .size:           8
        .value_kind:     global_buffer
      - .offset:         144
        .size:           8
        .value_kind:     by_value
      - .offset:         152
        .size:           8
        .value_kind:     by_value
      - .offset:         160
        .size:           8
        .value_kind:     by_value
      - .offset:         168
        .size:           8
        .value_kind:     by_value
      - .offset:         176
        .size:           4
        .value_kind:     hidden_block_count_x
      - .offset:         180
        .size:           4
        .value_kind:     hidden_block_count_y
      - .offset:         184
        .size:           4
        .value_kind:     hidden_block_count_z
      - .offset:         188
        .size:           2
        .value_kind:     hidden_group_size_x
      - .offset:         190
        .size:           2
        .value_kind:     hidden_group_size_y
      - .offset:         192
        .size:           2
        .value_kind:     hidden_group_size_z
      - .offset:         194
        .size:           2
        .value_kind:     hidden_remainder_x
      - .offset:         196
        .size:           2
        .value_kind:     hidden_remainder_y
      - .offset:         198
        .size:           2
        .value_kind:     hidden_remainder_z
      - .offset:         216
        .size:           8
        .value_kind:     hidden_global_offset_x
      - .offset:         224
        .size:           8
        .value_kind:     hidden_global_offset_y
      - .offset:         232
        .size:           8
        .value_kind:     hidden_global_offset_z
      - .offset:         240
        .size:           2
        .value_kind:     hidden_grid_dims
    .group_segment_fixed_size: 0
    .kernarg_segment_align: 8
    .kernarg_segment_size: 432
    .language:       OpenCL C
    .language_version:
      - 2
      - 0
    .max_flat_workgroup_size: 1024
    .name:           _ZN9rocsolver6v33100L11gemm_kernelIdlPKdPdPKS4_S6_EEvT0_S7_S7_T1_bT2_lS7_S7_lbT3_lS7_S7_lS8_T4_lS7_S7_l
    .private_segment_fixed_size: 0
    .sgpr_count:     56
    .sgpr_spill_count: 0
    .symbol:         _ZN9rocsolver6v33100L11gemm_kernelIdlPKdPdPKS4_S6_EEvT0_S7_S7_T1_bT2_lS7_S7_lbT3_lS7_S7_lS8_T4_lS7_S7_l.kd
    .uniform_work_group_size: 1
    .uses_dynamic_stack: false
    .vgpr_count:     16
    .vgpr_spill_count: 0
    .wavefront_size: 64
  - .agpr_count:     0
    .args:
      - .offset:         0
        .size:           8
        .value_kind:     by_value
      - .offset:         8
        .size:           8
        .value_kind:     by_value
      - .offset:         16
        .size:           8
        .value_kind:     by_value
      - .offset:         24
        .size:           8
        .value_kind:     by_value
      - .offset:         32
        .size:           1
        .value_kind:     by_value
      - .address_space:  global
        .offset:         40
        .size:           8
        .value_kind:     global_buffer
      - .offset:         48
        .size:           8
        .value_kind:     by_value
      - .offset:         56
        .size:           8
        .value_kind:     by_value
      - .offset:         64
        .size:           8
        .value_kind:     by_value
      - .offset:         72
        .size:           8
        .value_kind:     by_value
      - .offset:         80
        .size:           1
        .value_kind:     by_value
      - .address_space:  global
        .offset:         88
        .size:           8
        .value_kind:     global_buffer
      - .offset:         96
        .size:           8
        .value_kind:     by_value
      - .offset:         104
        .size:           8
        .value_kind:     by_value
      - .offset:         112
        .size:           8
        .value_kind:     by_value
      - .offset:         120
        .size:           8
        .value_kind:     by_value
      - .offset:         128
        .size:           8
        .value_kind:     by_value
      - .address_space:  global
        .offset:         136
        .size:           8
        .value_kind:     global_buffer
      - .offset:         144
        .size:           8
        .value_kind:     by_value
      - .offset:         152
        .size:           8
        .value_kind:     by_value
      - .offset:         160
        .size:           8
        .value_kind:     by_value
      - .offset:         168
        .size:           8
        .value_kind:     by_value
      - .offset:         176
        .size:           4
        .value_kind:     hidden_block_count_x
      - .offset:         180
        .size:           4
        .value_kind:     hidden_block_count_y
      - .offset:         184
        .size:           4
        .value_kind:     hidden_block_count_z
      - .offset:         188
        .size:           2
        .value_kind:     hidden_group_size_x
      - .offset:         190
        .size:           2
        .value_kind:     hidden_group_size_y
      - .offset:         192
        .size:           2
        .value_kind:     hidden_group_size_z
      - .offset:         194
        .size:           2
        .value_kind:     hidden_remainder_x
      - .offset:         196
        .size:           2
        .value_kind:     hidden_remainder_y
      - .offset:         198
        .size:           2
        .value_kind:     hidden_remainder_z
      - .offset:         216
        .size:           8
        .value_kind:     hidden_global_offset_x
      - .offset:         224
        .size:           8
        .value_kind:     hidden_global_offset_y
      - .offset:         232
        .size:           8
        .value_kind:     hidden_global_offset_z
      - .offset:         240
        .size:           2
        .value_kind:     hidden_grid_dims
    .group_segment_fixed_size: 0
    .kernarg_segment_align: 8
    .kernarg_segment_size: 432
    .language:       OpenCL C
    .language_version:
      - 2
      - 0
    .max_flat_workgroup_size: 1024
    .name:           _ZN9rocsolver6v33100L11gemm_kernelIdldPdPKS2_S4_EEvT0_S5_S5_T1_bT2_lS5_S5_lbT3_lS5_S5_lS6_T4_lS5_S5_l
    .private_segment_fixed_size: 0
    .sgpr_count:     56
    .sgpr_spill_count: 0
    .symbol:         _ZN9rocsolver6v33100L11gemm_kernelIdldPdPKS2_S4_EEvT0_S5_S5_T1_bT2_lS5_S5_lbT3_lS5_S5_lS6_T4_lS5_S5_l.kd
    .uniform_work_group_size: 1
    .uses_dynamic_stack: false
    .vgpr_count:     16
    .vgpr_spill_count: 0
    .wavefront_size: 64
  - .agpr_count:     0
    .args:
      - .offset:         0
        .size:           4
        .value_kind:     by_value
      - .offset:         4
        .size:           4
        .value_kind:     by_value
      - .offset:         8
        .size:           8
        .value_kind:     by_value
      - .offset:         16
        .size:           8
        .value_kind:     by_value
      - .offset:         24
        .size:           8
        .value_kind:     by_value
      - .address_space:  global
        .offset:         32
        .size:           8
        .value_kind:     global_buffer
      - .address_space:  global
        .offset:         40
        .size:           8
        .value_kind:     global_buffer
      - .offset:         48
        .size:           8
        .value_kind:     by_value
      - .offset:         56
        .size:           8
        .value_kind:     by_value
      - .offset:         64
        .size:           8
        .value_kind:     by_value
      - .offset:         72
        .size:           8
        .value_kind:     by_value
      - .address_space:  global
        .offset:         80
        .size:           8
        .value_kind:     global_buffer
      - .offset:         88
        .size:           8
        .value_kind:     by_value
      - .offset:         96
        .size:           8
        .value_kind:     by_value
      - .offset:         104
        .size:           8
        .value_kind:     by_value
      - .offset:         112
        .size:           8
        .value_kind:     by_value
      - .address_space:  global
        .offset:         120
        .size:           8
        .value_kind:     global_buffer
      - .address_space:  global
        .offset:         128
        .size:           8
        .value_kind:     global_buffer
      - .offset:         136
        .size:           8
        .value_kind:     by_value
      - .offset:         144
        .size:           8
        .value_kind:     by_value
      - .offset:         152
        .size:           8
        .value_kind:     by_value
      - .offset:         160
        .size:           8
        .value_kind:     by_value
      - .offset:         168
        .size:           4
        .value_kind:     hidden_block_count_x
      - .offset:         172
        .size:           4
        .value_kind:     hidden_block_count_y
      - .offset:         176
        .size:           4
        .value_kind:     hidden_block_count_z
      - .offset:         180
        .size:           2
        .value_kind:     hidden_group_size_x
      - .offset:         182
        .size:           2
        .value_kind:     hidden_group_size_y
      - .offset:         184
        .size:           2
        .value_kind:     hidden_group_size_z
      - .offset:         186
        .size:           2
        .value_kind:     hidden_remainder_x
      - .offset:         188
        .size:           2
        .value_kind:     hidden_remainder_y
      - .offset:         190
        .size:           2
        .value_kind:     hidden_remainder_z
      - .offset:         208
        .size:           8
        .value_kind:     hidden_global_offset_x
      - .offset:         216
        .size:           8
        .value_kind:     hidden_global_offset_y
      - .offset:         224
        .size:           8
        .value_kind:     hidden_global_offset_z
      - .offset:         232
        .size:           2
        .value_kind:     hidden_grid_dims
    .group_segment_fixed_size: 0
    .kernarg_segment_align: 8
    .kernarg_segment_size: 424
    .language:       OpenCL C
    .language_version:
      - 2
      - 0
    .max_flat_workgroup_size: 1024
    .name:           _ZN9rocsolver6v33100L16mfma_gemm_kernelIdlPKdPKPdS4_S6_EEv18rocblas_operation_S7_T0_S8_S8_T1_T2_lS8_S8_lT3_lS8_S8_lS9_T4_lS8_S8_l
    .private_segment_fixed_size: 0
    .sgpr_count:     56
    .sgpr_spill_count: 0
    .symbol:         _ZN9rocsolver6v33100L16mfma_gemm_kernelIdlPKdPKPdS4_S6_EEv18rocblas_operation_S7_T0_S8_S8_T1_T2_lS8_S8_lT3_lS8_S8_lS9_T4_lS8_S8_l.kd
    .uniform_work_group_size: 1
    .uses_dynamic_stack: false
    .vgpr_count:     37
    .vgpr_spill_count: 0
    .wavefront_size: 64
  - .agpr_count:     0
    .args:
      - .offset:         0
        .size:           4
        .value_kind:     by_value
      - .offset:         4
        .size:           4
        .value_kind:     by_value
      - .offset:         8
        .size:           8
        .value_kind:     by_value
      - .offset:         16
        .size:           8
        .value_kind:     by_value
      - .offset:         24
        .size:           8
        .value_kind:     by_value
      - .offset:         32
        .size:           8
        .value_kind:     by_value
      - .address_space:  global
        .offset:         40
        .size:           8
        .value_kind:     global_buffer
      - .offset:         48
        .size:           8
        .value_kind:     by_value
      - .offset:         56
        .size:           8
        .value_kind:     by_value
      - .offset:         64
        .size:           8
        .value_kind:     by_value
      - .offset:         72
        .size:           8
        .value_kind:     by_value
      - .address_space:  global
        .offset:         80
        .size:           8
        .value_kind:     global_buffer
      - .offset:         88
        .size:           8
        .value_kind:     by_value
      - .offset:         96
        .size:           8
        .value_kind:     by_value
      - .offset:         104
        .size:           8
        .value_kind:     by_value
      - .offset:         112
        .size:           8
        .value_kind:     by_value
      - .offset:         120
        .size:           8
        .value_kind:     by_value
      - .address_space:  global
        .offset:         128
        .size:           8
        .value_kind:     global_buffer
      - .offset:         136
        .size:           8
        .value_kind:     by_value
      - .offset:         144
        .size:           8
        .value_kind:     by_value
      - .offset:         152
        .size:           8
        .value_kind:     by_value
      - .offset:         160
        .size:           8
        .value_kind:     by_value
      - .offset:         168
        .size:           4
        .value_kind:     hidden_block_count_x
      - .offset:         172
        .size:           4
        .value_kind:     hidden_block_count_y
      - .offset:         176
        .size:           4
        .value_kind:     hidden_block_count_z
      - .offset:         180
        .size:           2
        .value_kind:     hidden_group_size_x
      - .offset:         182
        .size:           2
        .value_kind:     hidden_group_size_y
      - .offset:         184
        .size:           2
        .value_kind:     hidden_group_size_z
      - .offset:         186
        .size:           2
        .value_kind:     hidden_remainder_x
      - .offset:         188
        .size:           2
        .value_kind:     hidden_remainder_y
      - .offset:         190
        .size:           2
        .value_kind:     hidden_remainder_z
      - .offset:         208
        .size:           8
        .value_kind:     hidden_global_offset_x
      - .offset:         216
        .size:           8
        .value_kind:     hidden_global_offset_y
      - .offset:         224
        .size:           8
        .value_kind:     hidden_global_offset_z
      - .offset:         232
        .size:           2
        .value_kind:     hidden_grid_dims
    .group_segment_fixed_size: 0
    .kernarg_segment_align: 8
    .kernarg_segment_size: 424
    .language:       OpenCL C
    .language_version:
      - 2
      - 0
    .max_flat_workgroup_size: 1024
    .name:           _ZN9rocsolver6v33100L16mfma_gemm_kernelIdldPKPdS2_S4_EEv18rocblas_operation_S5_T0_S6_S6_T1_T2_lS6_S6_lT3_lS6_S6_lS7_T4_lS6_S6_l
    .private_segment_fixed_size: 0
    .sgpr_count:     56
    .sgpr_spill_count: 0
    .symbol:         _ZN9rocsolver6v33100L16mfma_gemm_kernelIdldPKPdS2_S4_EEv18rocblas_operation_S5_T0_S6_S6_T1_T2_lS6_S6_lT3_lS6_S6_lS7_T4_lS6_S6_l.kd
    .uniform_work_group_size: 1
    .uses_dynamic_stack: false
    .vgpr_count:     37
    .vgpr_spill_count: 0
    .wavefront_size: 64
  - .agpr_count:     0
    .args:
      - .offset:         0
        .size:           8
        .value_kind:     by_value
      - .offset:         8
        .size:           8
        .value_kind:     by_value
      - .offset:         16
        .size:           8
        .value_kind:     by_value
      - .address_space:  global
        .offset:         24
        .size:           8
        .value_kind:     global_buffer
      - .offset:         32
        .size:           1
        .value_kind:     by_value
      - .address_space:  global
        .offset:         40
        .size:           8
        .value_kind:     global_buffer
      - .offset:         48
        .size:           8
        .value_kind:     by_value
      - .offset:         56
        .size:           8
        .value_kind:     by_value
      - .offset:         64
        .size:           8
        .value_kind:     by_value
      - .offset:         72
        .size:           8
        .value_kind:     by_value
      - .offset:         80
        .size:           1
        .value_kind:     by_value
      - .address_space:  global
        .offset:         88
        .size:           8
        .value_kind:     global_buffer
      - .offset:         96
        .size:           8
        .value_kind:     by_value
      - .offset:         104
        .size:           8
        .value_kind:     by_value
      - .offset:         112
        .size:           8
        .value_kind:     by_value
      - .offset:         120
        .size:           8
        .value_kind:     by_value
      - .address_space:  global
        .offset:         128
        .size:           8
        .value_kind:     global_buffer
      - .address_space:  global
        .offset:         136
        .size:           8
        .value_kind:     global_buffer
      - .offset:         144
        .size:           8
        .value_kind:     by_value
      - .offset:         152
        .size:           8
        .value_kind:     by_value
      - .offset:         160
        .size:           8
        .value_kind:     by_value
      - .offset:         168
        .size:           8
        .value_kind:     by_value
      - .offset:         176
        .size:           4
        .value_kind:     hidden_block_count_x
      - .offset:         180
        .size:           4
        .value_kind:     hidden_block_count_y
      - .offset:         184
        .size:           4
        .value_kind:     hidden_block_count_z
      - .offset:         188
        .size:           2
        .value_kind:     hidden_group_size_x
      - .offset:         190
        .size:           2
        .value_kind:     hidden_group_size_y
      - .offset:         192
        .size:           2
        .value_kind:     hidden_group_size_z
      - .offset:         194
        .size:           2
        .value_kind:     hidden_remainder_x
      - .offset:         196
        .size:           2
        .value_kind:     hidden_remainder_y
      - .offset:         198
        .size:           2
        .value_kind:     hidden_remainder_z
      - .offset:         216
        .size:           8
        .value_kind:     hidden_global_offset_x
      - .offset:         224
        .size:           8
        .value_kind:     hidden_global_offset_y
      - .offset:         232
        .size:           8
        .value_kind:     hidden_global_offset_z
      - .offset:         240
        .size:           2
        .value_kind:     hidden_grid_dims
    .group_segment_fixed_size: 0
    .kernarg_segment_align: 8
    .kernarg_segment_size: 432
    .language:       OpenCL C
    .language_version:
      - 2
      - 0
    .max_flat_workgroup_size: 1024
    .name:           _ZN9rocsolver6v33100L11gemm_kernelIdlPKdPKPdS4_S6_EEvT0_S7_S7_T1_bT2_lS7_S7_lbT3_lS7_S7_lS8_T4_lS7_S7_l
    .private_segment_fixed_size: 0
    .sgpr_count:     48
    .sgpr_spill_count: 0
    .symbol:         _ZN9rocsolver6v33100L11gemm_kernelIdlPKdPKPdS4_S6_EEvT0_S7_S7_T1_bT2_lS7_S7_lbT3_lS7_S7_lS8_T4_lS7_S7_l.kd
    .uniform_work_group_size: 1
    .uses_dynamic_stack: false
    .vgpr_count:     16
    .vgpr_spill_count: 0
    .wavefront_size: 64
  - .agpr_count:     0
    .args:
      - .offset:         0
        .size:           8
        .value_kind:     by_value
      - .offset:         8
        .size:           8
        .value_kind:     by_value
      - .offset:         16
        .size:           8
        .value_kind:     by_value
      - .offset:         24
        .size:           8
        .value_kind:     by_value
      - .offset:         32
        .size:           1
        .value_kind:     by_value
      - .address_space:  global
        .offset:         40
        .size:           8
        .value_kind:     global_buffer
      - .offset:         48
        .size:           8
        .value_kind:     by_value
      - .offset:         56
        .size:           8
        .value_kind:     by_value
      - .offset:         64
        .size:           8
        .value_kind:     by_value
      - .offset:         72
        .size:           8
        .value_kind:     by_value
      - .offset:         80
        .size:           1
        .value_kind:     by_value
      - .address_space:  global
        .offset:         88
        .size:           8
        .value_kind:     global_buffer
      - .offset:         96
        .size:           8
        .value_kind:     by_value
      - .offset:         104
        .size:           8
        .value_kind:     by_value
      - .offset:         112
        .size:           8
        .value_kind:     by_value
      - .offset:         120
        .size:           8
        .value_kind:     by_value
      - .offset:         128
        .size:           8
        .value_kind:     by_value
      - .address_space:  global
        .offset:         136
        .size:           8
        .value_kind:     global_buffer
      - .offset:         144
        .size:           8
        .value_kind:     by_value
      - .offset:         152
        .size:           8
        .value_kind:     by_value
      - .offset:         160
        .size:           8
        .value_kind:     by_value
      - .offset:         168
        .size:           8
        .value_kind:     by_value
      - .offset:         176
        .size:           4
        .value_kind:     hidden_block_count_x
      - .offset:         180
        .size:           4
        .value_kind:     hidden_block_count_y
      - .offset:         184
        .size:           4
        .value_kind:     hidden_block_count_z
      - .offset:         188
        .size:           2
        .value_kind:     hidden_group_size_x
      - .offset:         190
        .size:           2
        .value_kind:     hidden_group_size_y
      - .offset:         192
        .size:           2
        .value_kind:     hidden_group_size_z
      - .offset:         194
        .size:           2
        .value_kind:     hidden_remainder_x
      - .offset:         196
        .size:           2
        .value_kind:     hidden_remainder_y
      - .offset:         198
        .size:           2
        .value_kind:     hidden_remainder_z
      - .offset:         216
        .size:           8
        .value_kind:     hidden_global_offset_x
      - .offset:         224
        .size:           8
        .value_kind:     hidden_global_offset_y
      - .offset:         232
        .size:           8
        .value_kind:     hidden_global_offset_z
      - .offset:         240
        .size:           2
        .value_kind:     hidden_grid_dims
    .group_segment_fixed_size: 0
    .kernarg_segment_align: 8
    .kernarg_segment_size: 432
    .language:       OpenCL C
    .language_version:
      - 2
      - 0
    .max_flat_workgroup_size: 1024
    .name:           _ZN9rocsolver6v33100L11gemm_kernelIdldPKPdS2_S4_EEvT0_S5_S5_T1_bT2_lS5_S5_lbT3_lS5_S5_lS6_T4_lS5_S5_l
    .private_segment_fixed_size: 0
    .sgpr_count:     48
    .sgpr_spill_count: 0
    .symbol:         _ZN9rocsolver6v33100L11gemm_kernelIdldPKPdS2_S4_EEvT0_S5_S5_T1_bT2_lS5_S5_lbT3_lS5_S5_lS6_T4_lS5_S5_l.kd
    .uniform_work_group_size: 1
    .uses_dynamic_stack: false
    .vgpr_count:     16
    .vgpr_spill_count: 0
    .wavefront_size: 64
  - .agpr_count:     0
    .args:
      - .offset:         0
        .size:           4
        .value_kind:     by_value
      - .offset:         4
        .size:           4
        .value_kind:     by_value
      - .offset:         8
        .size:           8
        .value_kind:     by_value
      - .offset:         16
        .size:           8
        .value_kind:     by_value
      - .offset:         24
        .size:           8
        .value_kind:     by_value
      - .address_space:  global
        .offset:         32
        .size:           8
        .value_kind:     global_buffer
      - .address_space:  global
        .offset:         40
        .size:           8
        .value_kind:     global_buffer
      - .offset:         48
        .size:           8
        .value_kind:     by_value
      - .offset:         56
        .size:           8
        .value_kind:     by_value
      - .offset:         64
        .size:           8
        .value_kind:     by_value
      - .offset:         72
        .size:           8
        .value_kind:     by_value
      - .address_space:  global
        .offset:         80
        .size:           8
        .value_kind:     global_buffer
      - .offset:         88
        .size:           8
        .value_kind:     by_value
      - .offset:         96
        .size:           8
        .value_kind:     by_value
      - .offset:         104
        .size:           8
        .value_kind:     by_value
      - .offset:         112
        .size:           8
        .value_kind:     by_value
      - .address_space:  global
        .offset:         120
        .size:           8
        .value_kind:     global_buffer
      - .address_space:  global
        .offset:         128
        .size:           8
        .value_kind:     global_buffer
      - .offset:         136
        .size:           8
        .value_kind:     by_value
      - .offset:         144
        .size:           8
        .value_kind:     by_value
      - .offset:         152
        .size:           8
        .value_kind:     by_value
      - .offset:         160
        .size:           8
        .value_kind:     by_value
      - .offset:         168
        .size:           4
        .value_kind:     hidden_block_count_x
      - .offset:         172
        .size:           4
        .value_kind:     hidden_block_count_y
      - .offset:         176
        .size:           4
        .value_kind:     hidden_block_count_z
      - .offset:         180
        .size:           2
        .value_kind:     hidden_group_size_x
      - .offset:         182
        .size:           2
        .value_kind:     hidden_group_size_y
      - .offset:         184
        .size:           2
        .value_kind:     hidden_group_size_z
      - .offset:         186
        .size:           2
        .value_kind:     hidden_remainder_x
      - .offset:         188
        .size:           2
        .value_kind:     hidden_remainder_y
      - .offset:         190
        .size:           2
        .value_kind:     hidden_remainder_z
      - .offset:         208
        .size:           8
        .value_kind:     hidden_global_offset_x
      - .offset:         216
        .size:           8
        .value_kind:     hidden_global_offset_y
      - .offset:         224
        .size:           8
        .value_kind:     hidden_global_offset_z
      - .offset:         232
        .size:           2
        .value_kind:     hidden_grid_dims
    .group_segment_fixed_size: 0
    .kernarg_segment_align: 8
    .kernarg_segment_size: 424
    .language:       OpenCL C
    .language_version:
      - 2
      - 0
    .max_flat_workgroup_size: 1024
    .name:           _ZN9rocsolver6v33100L16mfma_gemm_kernelIdlPKdPKPdS6_S4_EEv18rocblas_operation_S7_T0_S8_S8_T1_T2_lS8_S8_lT3_lS8_S8_lS9_T4_lS8_S8_l
    .private_segment_fixed_size: 0
    .sgpr_count:     56
    .sgpr_spill_count: 0
    .symbol:         _ZN9rocsolver6v33100L16mfma_gemm_kernelIdlPKdPKPdS6_S4_EEv18rocblas_operation_S7_T0_S8_S8_T1_T2_lS8_S8_lT3_lS8_S8_lS9_T4_lS8_S8_l.kd
    .uniform_work_group_size: 1
    .uses_dynamic_stack: false
    .vgpr_count:     37
    .vgpr_spill_count: 0
    .wavefront_size: 64
  - .agpr_count:     0
    .args:
      - .offset:         0
        .size:           4
        .value_kind:     by_value
      - .offset:         4
        .size:           4
        .value_kind:     by_value
      - .offset:         8
        .size:           8
        .value_kind:     by_value
      - .offset:         16
        .size:           8
        .value_kind:     by_value
      - .offset:         24
        .size:           8
        .value_kind:     by_value
      - .offset:         32
        .size:           8
        .value_kind:     by_value
      - .address_space:  global
        .offset:         40
        .size:           8
        .value_kind:     global_buffer
      - .offset:         48
        .size:           8
        .value_kind:     by_value
      - .offset:         56
        .size:           8
        .value_kind:     by_value
      - .offset:         64
        .size:           8
        .value_kind:     by_value
      - .offset:         72
        .size:           8
        .value_kind:     by_value
      - .address_space:  global
        .offset:         80
        .size:           8
        .value_kind:     global_buffer
      - .offset:         88
        .size:           8
        .value_kind:     by_value
      - .offset:         96
        .size:           8
        .value_kind:     by_value
      - .offset:         104
        .size:           8
        .value_kind:     by_value
      - .offset:         112
        .size:           8
        .value_kind:     by_value
      - .offset:         120
        .size:           8
        .value_kind:     by_value
      - .address_space:  global
        .offset:         128
        .size:           8
        .value_kind:     global_buffer
      - .offset:         136
        .size:           8
        .value_kind:     by_value
      - .offset:         144
        .size:           8
        .value_kind:     by_value
      - .offset:         152
        .size:           8
        .value_kind:     by_value
      - .offset:         160
        .size:           8
        .value_kind:     by_value
      - .offset:         168
        .size:           4
        .value_kind:     hidden_block_count_x
      - .offset:         172
        .size:           4
        .value_kind:     hidden_block_count_y
      - .offset:         176
        .size:           4
        .value_kind:     hidden_block_count_z
      - .offset:         180
        .size:           2
        .value_kind:     hidden_group_size_x
      - .offset:         182
        .size:           2
        .value_kind:     hidden_group_size_y
      - .offset:         184
        .size:           2
        .value_kind:     hidden_group_size_z
      - .offset:         186
        .size:           2
        .value_kind:     hidden_remainder_x
      - .offset:         188
        .size:           2
        .value_kind:     hidden_remainder_y
      - .offset:         190
        .size:           2
        .value_kind:     hidden_remainder_z
      - .offset:         208
        .size:           8
        .value_kind:     hidden_global_offset_x
      - .offset:         216
        .size:           8
        .value_kind:     hidden_global_offset_y
      - .offset:         224
        .size:           8
        .value_kind:     hidden_global_offset_z
      - .offset:         232
        .size:           2
        .value_kind:     hidden_grid_dims
    .group_segment_fixed_size: 0
    .kernarg_segment_align: 8
    .kernarg_segment_size: 424
    .language:       OpenCL C
    .language_version:
      - 2
      - 0
    .max_flat_workgroup_size: 1024
    .name:           _ZN9rocsolver6v33100L16mfma_gemm_kernelIdldPKPdS4_S2_EEv18rocblas_operation_S5_T0_S6_S6_T1_T2_lS6_S6_lT3_lS6_S6_lS7_T4_lS6_S6_l
    .private_segment_fixed_size: 0
    .sgpr_count:     48
    .sgpr_spill_count: 0
    .symbol:         _ZN9rocsolver6v33100L16mfma_gemm_kernelIdldPKPdS4_S2_EEv18rocblas_operation_S5_T0_S6_S6_T1_T2_lS6_S6_lT3_lS6_S6_lS7_T4_lS6_S6_l.kd
    .uniform_work_group_size: 1
    .uses_dynamic_stack: false
    .vgpr_count:     37
    .vgpr_spill_count: 0
    .wavefront_size: 64
  - .agpr_count:     0
    .args:
      - .offset:         0
        .size:           8
        .value_kind:     by_value
      - .offset:         8
        .size:           8
        .value_kind:     by_value
      - .offset:         16
        .size:           8
        .value_kind:     by_value
      - .address_space:  global
        .offset:         24
        .size:           8
        .value_kind:     global_buffer
      - .offset:         32
        .size:           1
        .value_kind:     by_value
      - .address_space:  global
        .offset:         40
        .size:           8
        .value_kind:     global_buffer
      - .offset:         48
        .size:           8
        .value_kind:     by_value
      - .offset:         56
        .size:           8
        .value_kind:     by_value
      - .offset:         64
        .size:           8
        .value_kind:     by_value
      - .offset:         72
        .size:           8
        .value_kind:     by_value
      - .offset:         80
        .size:           1
        .value_kind:     by_value
      - .address_space:  global
        .offset:         88
        .size:           8
        .value_kind:     global_buffer
      - .offset:         96
        .size:           8
        .value_kind:     by_value
      - .offset:         104
        .size:           8
        .value_kind:     by_value
      - .offset:         112
        .size:           8
        .value_kind:     by_value
      - .offset:         120
        .size:           8
        .value_kind:     by_value
      - .address_space:  global
        .offset:         128
        .size:           8
        .value_kind:     global_buffer
      - .address_space:  global
        .offset:         136
        .size:           8
        .value_kind:     global_buffer
      - .offset:         144
        .size:           8
        .value_kind:     by_value
      - .offset:         152
        .size:           8
        .value_kind:     by_value
      - .offset:         160
        .size:           8
        .value_kind:     by_value
      - .offset:         168
        .size:           8
        .value_kind:     by_value
      - .offset:         176
        .size:           4
        .value_kind:     hidden_block_count_x
      - .offset:         180
        .size:           4
        .value_kind:     hidden_block_count_y
      - .offset:         184
        .size:           4
        .value_kind:     hidden_block_count_z
      - .offset:         188
        .size:           2
        .value_kind:     hidden_group_size_x
      - .offset:         190
        .size:           2
        .value_kind:     hidden_group_size_y
      - .offset:         192
        .size:           2
        .value_kind:     hidden_group_size_z
      - .offset:         194
        .size:           2
        .value_kind:     hidden_remainder_x
      - .offset:         196
        .size:           2
        .value_kind:     hidden_remainder_y
      - .offset:         198
        .size:           2
        .value_kind:     hidden_remainder_z
      - .offset:         216
        .size:           8
        .value_kind:     hidden_global_offset_x
      - .offset:         224
        .size:           8
        .value_kind:     hidden_global_offset_y
      - .offset:         232
        .size:           8
        .value_kind:     hidden_global_offset_z
      - .offset:         240
        .size:           2
        .value_kind:     hidden_grid_dims
    .group_segment_fixed_size: 0
    .kernarg_segment_align: 8
    .kernarg_segment_size: 432
    .language:       OpenCL C
    .language_version:
      - 2
      - 0
    .max_flat_workgroup_size: 1024
    .name:           _ZN9rocsolver6v33100L11gemm_kernelIdlPKdPKPdS6_S4_EEvT0_S7_S7_T1_bT2_lS7_S7_lbT3_lS7_S7_lS8_T4_lS7_S7_l
    .private_segment_fixed_size: 0
    .sgpr_count:     56
    .sgpr_spill_count: 0
    .symbol:         _ZN9rocsolver6v33100L11gemm_kernelIdlPKdPKPdS6_S4_EEvT0_S7_S7_T1_bT2_lS7_S7_lbT3_lS7_S7_lS8_T4_lS7_S7_l.kd
    .uniform_work_group_size: 1
    .uses_dynamic_stack: false
    .vgpr_count:     16
    .vgpr_spill_count: 0
    .wavefront_size: 64
  - .agpr_count:     0
    .args:
      - .offset:         0
        .size:           8
        .value_kind:     by_value
      - .offset:         8
        .size:           8
        .value_kind:     by_value
      - .offset:         16
        .size:           8
        .value_kind:     by_value
      - .offset:         24
        .size:           8
        .value_kind:     by_value
      - .offset:         32
        .size:           1
        .value_kind:     by_value
      - .address_space:  global
        .offset:         40
        .size:           8
        .value_kind:     global_buffer
      - .offset:         48
        .size:           8
        .value_kind:     by_value
      - .offset:         56
        .size:           8
        .value_kind:     by_value
      - .offset:         64
        .size:           8
        .value_kind:     by_value
      - .offset:         72
        .size:           8
        .value_kind:     by_value
      - .offset:         80
        .size:           1
        .value_kind:     by_value
      - .address_space:  global
        .offset:         88
        .size:           8
        .value_kind:     global_buffer
      - .offset:         96
        .size:           8
        .value_kind:     by_value
      - .offset:         104
        .size:           8
        .value_kind:     by_value
      - .offset:         112
        .size:           8
        .value_kind:     by_value
      - .offset:         120
        .size:           8
        .value_kind:     by_value
      - .offset:         128
        .size:           8
        .value_kind:     by_value
      - .address_space:  global
        .offset:         136
        .size:           8
        .value_kind:     global_buffer
      - .offset:         144
        .size:           8
        .value_kind:     by_value
      - .offset:         152
        .size:           8
        .value_kind:     by_value
      - .offset:         160
        .size:           8
        .value_kind:     by_value
      - .offset:         168
        .size:           8
        .value_kind:     by_value
      - .offset:         176
        .size:           4
        .value_kind:     hidden_block_count_x
      - .offset:         180
        .size:           4
        .value_kind:     hidden_block_count_y
      - .offset:         184
        .size:           4
        .value_kind:     hidden_block_count_z
      - .offset:         188
        .size:           2
        .value_kind:     hidden_group_size_x
      - .offset:         190
        .size:           2
        .value_kind:     hidden_group_size_y
      - .offset:         192
        .size:           2
        .value_kind:     hidden_group_size_z
      - .offset:         194
        .size:           2
        .value_kind:     hidden_remainder_x
      - .offset:         196
        .size:           2
        .value_kind:     hidden_remainder_y
      - .offset:         198
        .size:           2
        .value_kind:     hidden_remainder_z
      - .offset:         216
        .size:           8
        .value_kind:     hidden_global_offset_x
      - .offset:         224
        .size:           8
        .value_kind:     hidden_global_offset_y
      - .offset:         232
        .size:           8
        .value_kind:     hidden_global_offset_z
      - .offset:         240
        .size:           2
        .value_kind:     hidden_grid_dims
    .group_segment_fixed_size: 0
    .kernarg_segment_align: 8
    .kernarg_segment_size: 432
    .language:       OpenCL C
    .language_version:
      - 2
      - 0
    .max_flat_workgroup_size: 1024
    .name:           _ZN9rocsolver6v33100L11gemm_kernelIdldPKPdS4_S2_EEvT0_S5_S5_T1_bT2_lS5_S5_lbT3_lS5_S5_lS6_T4_lS5_S5_l
    .private_segment_fixed_size: 0
    .sgpr_count:     48
    .sgpr_spill_count: 0
    .symbol:         _ZN9rocsolver6v33100L11gemm_kernelIdldPKPdS4_S2_EEvT0_S5_S5_T1_bT2_lS5_S5_lbT3_lS5_S5_lS6_T4_lS5_S5_l.kd
    .uniform_work_group_size: 1
    .uses_dynamic_stack: false
    .vgpr_count:     16
    .vgpr_spill_count: 0
    .wavefront_size: 64
  - .agpr_count:     0
    .args:
      - .offset:         0
        .size:           4
        .value_kind:     by_value
      - .offset:         4
        .size:           4
        .value_kind:     by_value
      - .offset:         8
        .size:           8
        .value_kind:     by_value
      - .offset:         16
        .size:           8
        .value_kind:     by_value
      - .offset:         24
        .size:           8
        .value_kind:     by_value
      - .address_space:  global
        .offset:         32
        .size:           8
        .value_kind:     global_buffer
      - .address_space:  global
        .offset:         40
        .size:           8
        .value_kind:     global_buffer
      - .offset:         48
        .size:           8
        .value_kind:     by_value
      - .offset:         56
        .size:           8
        .value_kind:     by_value
      - .offset:         64
        .size:           8
        .value_kind:     by_value
      - .offset:         72
        .size:           8
        .value_kind:     by_value
      - .address_space:  global
        .offset:         80
        .size:           8
        .value_kind:     global_buffer
      - .offset:         88
        .size:           8
        .value_kind:     by_value
      - .offset:         96
        .size:           8
        .value_kind:     by_value
      - .offset:         104
        .size:           8
        .value_kind:     by_value
      - .offset:         112
        .size:           8
        .value_kind:     by_value
      - .address_space:  global
        .offset:         120
        .size:           8
        .value_kind:     global_buffer
      - .address_space:  global
        .offset:         128
        .size:           8
        .value_kind:     global_buffer
      - .offset:         136
        .size:           8
        .value_kind:     by_value
      - .offset:         144
        .size:           8
        .value_kind:     by_value
      - .offset:         152
        .size:           8
        .value_kind:     by_value
      - .offset:         160
        .size:           8
        .value_kind:     by_value
      - .offset:         168
        .size:           4
        .value_kind:     hidden_block_count_x
      - .offset:         172
        .size:           4
        .value_kind:     hidden_block_count_y
      - .offset:         176
        .size:           4
        .value_kind:     hidden_block_count_z
      - .offset:         180
        .size:           2
        .value_kind:     hidden_group_size_x
      - .offset:         182
        .size:           2
        .value_kind:     hidden_group_size_y
      - .offset:         184
        .size:           2
        .value_kind:     hidden_group_size_z
      - .offset:         186
        .size:           2
        .value_kind:     hidden_remainder_x
      - .offset:         188
        .size:           2
        .value_kind:     hidden_remainder_y
      - .offset:         190
        .size:           2
        .value_kind:     hidden_remainder_z
      - .offset:         208
        .size:           8
        .value_kind:     hidden_global_offset_x
      - .offset:         216
        .size:           8
        .value_kind:     hidden_global_offset_y
      - .offset:         224
        .size:           8
        .value_kind:     hidden_global_offset_z
      - .offset:         232
        .size:           2
        .value_kind:     hidden_grid_dims
    .group_segment_fixed_size: 0
    .kernarg_segment_align: 8
    .kernarg_segment_size: 424
    .language:       OpenCL C
    .language_version:
      - 2
      - 0
    .max_flat_workgroup_size: 1024
    .name:           _ZN9rocsolver6v33100L16mfma_gemm_kernelIdlPKdPKPdS4_S4_EEv18rocblas_operation_S7_T0_S8_S8_T1_T2_lS8_S8_lT3_lS8_S8_lS9_T4_lS8_S8_l
    .private_segment_fixed_size: 0
    .sgpr_count:     56
    .sgpr_spill_count: 0
    .symbol:         _ZN9rocsolver6v33100L16mfma_gemm_kernelIdlPKdPKPdS4_S4_EEv18rocblas_operation_S7_T0_S8_S8_T1_T2_lS8_S8_lT3_lS8_S8_lS9_T4_lS8_S8_l.kd
    .uniform_work_group_size: 1
    .uses_dynamic_stack: false
    .vgpr_count:     37
    .vgpr_spill_count: 0
    .wavefront_size: 64
  - .agpr_count:     0
    .args:
      - .offset:         0
        .size:           4
        .value_kind:     by_value
      - .offset:         4
        .size:           4
        .value_kind:     by_value
      - .offset:         8
        .size:           8
        .value_kind:     by_value
      - .offset:         16
        .size:           8
        .value_kind:     by_value
      - .offset:         24
        .size:           8
        .value_kind:     by_value
      - .offset:         32
        .size:           8
        .value_kind:     by_value
      - .address_space:  global
        .offset:         40
        .size:           8
        .value_kind:     global_buffer
      - .offset:         48
        .size:           8
        .value_kind:     by_value
      - .offset:         56
        .size:           8
        .value_kind:     by_value
      - .offset:         64
        .size:           8
        .value_kind:     by_value
      - .offset:         72
        .size:           8
        .value_kind:     by_value
      - .address_space:  global
        .offset:         80
        .size:           8
        .value_kind:     global_buffer
      - .offset:         88
        .size:           8
        .value_kind:     by_value
      - .offset:         96
        .size:           8
        .value_kind:     by_value
      - .offset:         104
        .size:           8
        .value_kind:     by_value
      - .offset:         112
        .size:           8
        .value_kind:     by_value
      - .offset:         120
        .size:           8
        .value_kind:     by_value
      - .address_space:  global
        .offset:         128
        .size:           8
        .value_kind:     global_buffer
      - .offset:         136
        .size:           8
        .value_kind:     by_value
      - .offset:         144
        .size:           8
        .value_kind:     by_value
      - .offset:         152
        .size:           8
        .value_kind:     by_value
      - .offset:         160
        .size:           8
        .value_kind:     by_value
      - .offset:         168
        .size:           4
        .value_kind:     hidden_block_count_x
      - .offset:         172
        .size:           4
        .value_kind:     hidden_block_count_y
      - .offset:         176
        .size:           4
        .value_kind:     hidden_block_count_z
      - .offset:         180
        .size:           2
        .value_kind:     hidden_group_size_x
      - .offset:         182
        .size:           2
        .value_kind:     hidden_group_size_y
      - .offset:         184
        .size:           2
        .value_kind:     hidden_group_size_z
      - .offset:         186
        .size:           2
        .value_kind:     hidden_remainder_x
      - .offset:         188
        .size:           2
        .value_kind:     hidden_remainder_y
      - .offset:         190
        .size:           2
        .value_kind:     hidden_remainder_z
      - .offset:         208
        .size:           8
        .value_kind:     hidden_global_offset_x
      - .offset:         216
        .size:           8
        .value_kind:     hidden_global_offset_y
      - .offset:         224
        .size:           8
        .value_kind:     hidden_global_offset_z
      - .offset:         232
        .size:           2
        .value_kind:     hidden_grid_dims
    .group_segment_fixed_size: 0
    .kernarg_segment_align: 8
    .kernarg_segment_size: 424
    .language:       OpenCL C
    .language_version:
      - 2
      - 0
    .max_flat_workgroup_size: 1024
    .name:           _ZN9rocsolver6v33100L16mfma_gemm_kernelIdldPKPdS2_S2_EEv18rocblas_operation_S5_T0_S6_S6_T1_T2_lS6_S6_lT3_lS6_S6_lS7_T4_lS6_S6_l
    .private_segment_fixed_size: 0
    .sgpr_count:     56
    .sgpr_spill_count: 0
    .symbol:         _ZN9rocsolver6v33100L16mfma_gemm_kernelIdldPKPdS2_S2_EEv18rocblas_operation_S5_T0_S6_S6_T1_T2_lS6_S6_lT3_lS6_S6_lS7_T4_lS6_S6_l.kd
    .uniform_work_group_size: 1
    .uses_dynamic_stack: false
    .vgpr_count:     37
    .vgpr_spill_count: 0
    .wavefront_size: 64
  - .agpr_count:     0
    .args:
      - .offset:         0
        .size:           8
        .value_kind:     by_value
      - .offset:         8
        .size:           8
        .value_kind:     by_value
      - .offset:         16
        .size:           8
        .value_kind:     by_value
      - .address_space:  global
        .offset:         24
        .size:           8
        .value_kind:     global_buffer
      - .offset:         32
        .size:           1
        .value_kind:     by_value
      - .address_space:  global
        .offset:         40
        .size:           8
        .value_kind:     global_buffer
      - .offset:         48
        .size:           8
        .value_kind:     by_value
      - .offset:         56
        .size:           8
        .value_kind:     by_value
      - .offset:         64
        .size:           8
        .value_kind:     by_value
      - .offset:         72
        .size:           8
        .value_kind:     by_value
      - .offset:         80
        .size:           1
        .value_kind:     by_value
      - .address_space:  global
        .offset:         88
        .size:           8
        .value_kind:     global_buffer
      - .offset:         96
        .size:           8
        .value_kind:     by_value
      - .offset:         104
        .size:           8
        .value_kind:     by_value
      - .offset:         112
        .size:           8
        .value_kind:     by_value
      - .offset:         120
        .size:           8
        .value_kind:     by_value
      - .address_space:  global
        .offset:         128
        .size:           8
        .value_kind:     global_buffer
      - .address_space:  global
        .offset:         136
        .size:           8
        .value_kind:     global_buffer
      - .offset:         144
        .size:           8
        .value_kind:     by_value
      - .offset:         152
        .size:           8
        .value_kind:     by_value
      - .offset:         160
        .size:           8
        .value_kind:     by_value
      - .offset:         168
        .size:           8
        .value_kind:     by_value
      - .offset:         176
        .size:           4
        .value_kind:     hidden_block_count_x
      - .offset:         180
        .size:           4
        .value_kind:     hidden_block_count_y
      - .offset:         184
        .size:           4
        .value_kind:     hidden_block_count_z
      - .offset:         188
        .size:           2
        .value_kind:     hidden_group_size_x
      - .offset:         190
        .size:           2
        .value_kind:     hidden_group_size_y
      - .offset:         192
        .size:           2
        .value_kind:     hidden_group_size_z
      - .offset:         194
        .size:           2
        .value_kind:     hidden_remainder_x
      - .offset:         196
        .size:           2
        .value_kind:     hidden_remainder_y
      - .offset:         198
        .size:           2
        .value_kind:     hidden_remainder_z
      - .offset:         216
        .size:           8
        .value_kind:     hidden_global_offset_x
      - .offset:         224
        .size:           8
        .value_kind:     hidden_global_offset_y
      - .offset:         232
        .size:           8
        .value_kind:     hidden_global_offset_z
      - .offset:         240
        .size:           2
        .value_kind:     hidden_grid_dims
    .group_segment_fixed_size: 0
    .kernarg_segment_align: 8
    .kernarg_segment_size: 432
    .language:       OpenCL C
    .language_version:
      - 2
      - 0
    .max_flat_workgroup_size: 1024
    .name:           _ZN9rocsolver6v33100L11gemm_kernelIdlPKdPKPdS4_S4_EEvT0_S7_S7_T1_bT2_lS7_S7_lbT3_lS7_S7_lS8_T4_lS7_S7_l
    .private_segment_fixed_size: 0
    .sgpr_count:     48
    .sgpr_spill_count: 0
    .symbol:         _ZN9rocsolver6v33100L11gemm_kernelIdlPKdPKPdS4_S4_EEvT0_S7_S7_T1_bT2_lS7_S7_lbT3_lS7_S7_lS8_T4_lS7_S7_l.kd
    .uniform_work_group_size: 1
    .uses_dynamic_stack: false
    .vgpr_count:     16
    .vgpr_spill_count: 0
    .wavefront_size: 64
  - .agpr_count:     0
    .args:
      - .offset:         0
        .size:           8
        .value_kind:     by_value
      - .offset:         8
        .size:           8
        .value_kind:     by_value
      - .offset:         16
        .size:           8
        .value_kind:     by_value
      - .offset:         24
        .size:           8
        .value_kind:     by_value
      - .offset:         32
        .size:           1
        .value_kind:     by_value
      - .address_space:  global
        .offset:         40
        .size:           8
        .value_kind:     global_buffer
      - .offset:         48
        .size:           8
        .value_kind:     by_value
      - .offset:         56
        .size:           8
        .value_kind:     by_value
      - .offset:         64
        .size:           8
        .value_kind:     by_value
      - .offset:         72
        .size:           8
        .value_kind:     by_value
      - .offset:         80
        .size:           1
        .value_kind:     by_value
      - .address_space:  global
        .offset:         88
        .size:           8
        .value_kind:     global_buffer
      - .offset:         96
        .size:           8
        .value_kind:     by_value
      - .offset:         104
        .size:           8
        .value_kind:     by_value
      - .offset:         112
        .size:           8
        .value_kind:     by_value
      - .offset:         120
        .size:           8
        .value_kind:     by_value
      - .offset:         128
        .size:           8
        .value_kind:     by_value
      - .address_space:  global
        .offset:         136
        .size:           8
        .value_kind:     global_buffer
      - .offset:         144
        .size:           8
        .value_kind:     by_value
      - .offset:         152
        .size:           8
        .value_kind:     by_value
      - .offset:         160
        .size:           8
        .value_kind:     by_value
      - .offset:         168
        .size:           8
        .value_kind:     by_value
      - .offset:         176
        .size:           4
        .value_kind:     hidden_block_count_x
      - .offset:         180
        .size:           4
        .value_kind:     hidden_block_count_y
      - .offset:         184
        .size:           4
        .value_kind:     hidden_block_count_z
      - .offset:         188
        .size:           2
        .value_kind:     hidden_group_size_x
      - .offset:         190
        .size:           2
        .value_kind:     hidden_group_size_y
      - .offset:         192
        .size:           2
        .value_kind:     hidden_group_size_z
      - .offset:         194
        .size:           2
        .value_kind:     hidden_remainder_x
      - .offset:         196
        .size:           2
        .value_kind:     hidden_remainder_y
      - .offset:         198
        .size:           2
        .value_kind:     hidden_remainder_z
      - .offset:         216
        .size:           8
        .value_kind:     hidden_global_offset_x
      - .offset:         224
        .size:           8
        .value_kind:     hidden_global_offset_y
      - .offset:         232
        .size:           8
        .value_kind:     hidden_global_offset_z
      - .offset:         240
        .size:           2
        .value_kind:     hidden_grid_dims
    .group_segment_fixed_size: 0
    .kernarg_segment_align: 8
    .kernarg_segment_size: 432
    .language:       OpenCL C
    .language_version:
      - 2
      - 0
    .max_flat_workgroup_size: 1024
    .name:           _ZN9rocsolver6v33100L11gemm_kernelIdldPKPdS2_S2_EEvT0_S5_S5_T1_bT2_lS5_S5_lbT3_lS5_S5_lS6_T4_lS5_S5_l
    .private_segment_fixed_size: 0
    .sgpr_count:     48
    .sgpr_spill_count: 0
    .symbol:         _ZN9rocsolver6v33100L11gemm_kernelIdldPKPdS2_S2_EEvT0_S5_S5_T1_bT2_lS5_S5_lbT3_lS5_S5_lS6_T4_lS5_S5_l.kd
    .uniform_work_group_size: 1
    .uses_dynamic_stack: false
    .vgpr_count:     16
    .vgpr_spill_count: 0
    .wavefront_size: 64
  - .agpr_count:     0
    .args:
      - .offset:         0
        .size:           4
        .value_kind:     by_value
      - .offset:         4
        .size:           4
        .value_kind:     by_value
      - .offset:         8
        .size:           8
        .value_kind:     by_value
      - .offset:         16
        .size:           8
        .value_kind:     by_value
      - .offset:         24
        .size:           8
        .value_kind:     by_value
      - .address_space:  global
        .offset:         32
        .size:           8
        .value_kind:     global_buffer
      - .address_space:  global
        .offset:         40
        .size:           8
        .value_kind:     global_buffer
      - .offset:         48
        .size:           8
        .value_kind:     by_value
      - .offset:         56
        .size:           8
        .value_kind:     by_value
      - .offset:         64
        .size:           8
        .value_kind:     by_value
      - .offset:         72
        .size:           8
        .value_kind:     by_value
      - .address_space:  global
        .offset:         80
        .size:           8
        .value_kind:     global_buffer
      - .offset:         88
        .size:           8
        .value_kind:     by_value
      - .offset:         96
        .size:           8
        .value_kind:     by_value
      - .offset:         104
        .size:           8
        .value_kind:     by_value
      - .offset:         112
        .size:           8
        .value_kind:     by_value
      - .address_space:  global
        .offset:         120
        .size:           8
        .value_kind:     global_buffer
      - .address_space:  global
        .offset:         128
        .size:           8
        .value_kind:     global_buffer
      - .offset:         136
        .size:           8
        .value_kind:     by_value
      - .offset:         144
        .size:           8
        .value_kind:     by_value
      - .offset:         152
        .size:           8
        .value_kind:     by_value
      - .offset:         160
        .size:           8
        .value_kind:     by_value
      - .offset:         168
        .size:           4
        .value_kind:     hidden_block_count_x
      - .offset:         172
        .size:           4
        .value_kind:     hidden_block_count_y
      - .offset:         176
        .size:           4
        .value_kind:     hidden_block_count_z
      - .offset:         180
        .size:           2
        .value_kind:     hidden_group_size_x
      - .offset:         182
        .size:           2
        .value_kind:     hidden_group_size_y
      - .offset:         184
        .size:           2
        .value_kind:     hidden_group_size_z
      - .offset:         186
        .size:           2
        .value_kind:     hidden_remainder_x
      - .offset:         188
        .size:           2
        .value_kind:     hidden_remainder_y
      - .offset:         190
        .size:           2
        .value_kind:     hidden_remainder_z
      - .offset:         208
        .size:           8
        .value_kind:     hidden_global_offset_x
      - .offset:         216
        .size:           8
        .value_kind:     hidden_global_offset_y
      - .offset:         224
        .size:           8
        .value_kind:     hidden_global_offset_z
      - .offset:         232
        .size:           2
        .value_kind:     hidden_grid_dims
    .group_segment_fixed_size: 0
    .kernarg_segment_align: 8
    .kernarg_segment_size: 424
    .language:       OpenCL C
    .language_version:
      - 2
      - 0
    .max_flat_workgroup_size: 1024
    .name:           _ZN9rocsolver6v33100L16mfma_gemm_kernelIdlPKdPdPKS4_S4_EEv18rocblas_operation_S7_T0_S8_S8_T1_T2_lS8_S8_lT3_lS8_S8_lS9_T4_lS8_S8_l
    .private_segment_fixed_size: 0
    .sgpr_count:     56
    .sgpr_spill_count: 0
    .symbol:         _ZN9rocsolver6v33100L16mfma_gemm_kernelIdlPKdPdPKS4_S4_EEv18rocblas_operation_S7_T0_S8_S8_T1_T2_lS8_S8_lT3_lS8_S8_lS9_T4_lS8_S8_l.kd
    .uniform_work_group_size: 1
    .uses_dynamic_stack: false
    .vgpr_count:     37
    .vgpr_spill_count: 0
    .wavefront_size: 64
  - .agpr_count:     0
    .args:
      - .offset:         0
        .size:           4
        .value_kind:     by_value
      - .offset:         4
        .size:           4
        .value_kind:     by_value
      - .offset:         8
        .size:           8
        .value_kind:     by_value
      - .offset:         16
        .size:           8
        .value_kind:     by_value
      - .offset:         24
        .size:           8
        .value_kind:     by_value
      - .offset:         32
        .size:           8
        .value_kind:     by_value
      - .address_space:  global
        .offset:         40
        .size:           8
        .value_kind:     global_buffer
      - .offset:         48
        .size:           8
        .value_kind:     by_value
      - .offset:         56
        .size:           8
        .value_kind:     by_value
      - .offset:         64
        .size:           8
        .value_kind:     by_value
      - .offset:         72
        .size:           8
        .value_kind:     by_value
      - .address_space:  global
        .offset:         80
        .size:           8
        .value_kind:     global_buffer
      - .offset:         88
        .size:           8
        .value_kind:     by_value
      - .offset:         96
        .size:           8
        .value_kind:     by_value
      - .offset:         104
        .size:           8
        .value_kind:     by_value
      - .offset:         112
        .size:           8
        .value_kind:     by_value
      - .offset:         120
        .size:           8
        .value_kind:     by_value
      - .address_space:  global
        .offset:         128
        .size:           8
        .value_kind:     global_buffer
      - .offset:         136
        .size:           8
        .value_kind:     by_value
      - .offset:         144
        .size:           8
        .value_kind:     by_value
      - .offset:         152
        .size:           8
        .value_kind:     by_value
      - .offset:         160
        .size:           8
        .value_kind:     by_value
      - .offset:         168
        .size:           4
        .value_kind:     hidden_block_count_x
      - .offset:         172
        .size:           4
        .value_kind:     hidden_block_count_y
      - .offset:         176
        .size:           4
        .value_kind:     hidden_block_count_z
      - .offset:         180
        .size:           2
        .value_kind:     hidden_group_size_x
      - .offset:         182
        .size:           2
        .value_kind:     hidden_group_size_y
      - .offset:         184
        .size:           2
        .value_kind:     hidden_group_size_z
      - .offset:         186
        .size:           2
        .value_kind:     hidden_remainder_x
      - .offset:         188
        .size:           2
        .value_kind:     hidden_remainder_y
      - .offset:         190
        .size:           2
        .value_kind:     hidden_remainder_z
      - .offset:         208
        .size:           8
        .value_kind:     hidden_global_offset_x
      - .offset:         216
        .size:           8
        .value_kind:     hidden_global_offset_y
      - .offset:         224
        .size:           8
        .value_kind:     hidden_global_offset_z
      - .offset:         232
        .size:           2
        .value_kind:     hidden_grid_dims
    .group_segment_fixed_size: 0
    .kernarg_segment_align: 8
    .kernarg_segment_size: 424
    .language:       OpenCL C
    .language_version:
      - 2
      - 0
    .max_flat_workgroup_size: 1024
    .name:           _ZN9rocsolver6v33100L16mfma_gemm_kernelIdldPdPKS2_S2_EEv18rocblas_operation_S5_T0_S6_S6_T1_T2_lS6_S6_lT3_lS6_S6_lS7_T4_lS6_S6_l
    .private_segment_fixed_size: 0
    .sgpr_count:     48
    .sgpr_spill_count: 0
    .symbol:         _ZN9rocsolver6v33100L16mfma_gemm_kernelIdldPdPKS2_S2_EEv18rocblas_operation_S5_T0_S6_S6_T1_T2_lS6_S6_lT3_lS6_S6_lS7_T4_lS6_S6_l.kd
    .uniform_work_group_size: 1
    .uses_dynamic_stack: false
    .vgpr_count:     37
    .vgpr_spill_count: 0
    .wavefront_size: 64
  - .agpr_count:     0
    .args:
      - .offset:         0
        .size:           8
        .value_kind:     by_value
      - .offset:         8
        .size:           8
        .value_kind:     by_value
      - .offset:         16
        .size:           8
        .value_kind:     by_value
      - .address_space:  global
        .offset:         24
        .size:           8
        .value_kind:     global_buffer
      - .offset:         32
        .size:           1
        .value_kind:     by_value
      - .address_space:  global
        .offset:         40
        .size:           8
        .value_kind:     global_buffer
      - .offset:         48
        .size:           8
        .value_kind:     by_value
      - .offset:         56
        .size:           8
        .value_kind:     by_value
      - .offset:         64
        .size:           8
        .value_kind:     by_value
      - .offset:         72
        .size:           8
        .value_kind:     by_value
      - .offset:         80
        .size:           1
        .value_kind:     by_value
      - .address_space:  global
        .offset:         88
        .size:           8
        .value_kind:     global_buffer
      - .offset:         96
        .size:           8
        .value_kind:     by_value
      - .offset:         104
        .size:           8
        .value_kind:     by_value
      - .offset:         112
        .size:           8
        .value_kind:     by_value
      - .offset:         120
        .size:           8
        .value_kind:     by_value
      - .address_space:  global
        .offset:         128
        .size:           8
        .value_kind:     global_buffer
      - .address_space:  global
        .offset:         136
        .size:           8
        .value_kind:     global_buffer
      - .offset:         144
        .size:           8
        .value_kind:     by_value
      - .offset:         152
        .size:           8
        .value_kind:     by_value
      - .offset:         160
        .size:           8
        .value_kind:     by_value
      - .offset:         168
        .size:           8
        .value_kind:     by_value
      - .offset:         176
        .size:           4
        .value_kind:     hidden_block_count_x
      - .offset:         180
        .size:           4
        .value_kind:     hidden_block_count_y
      - .offset:         184
        .size:           4
        .value_kind:     hidden_block_count_z
      - .offset:         188
        .size:           2
        .value_kind:     hidden_group_size_x
      - .offset:         190
        .size:           2
        .value_kind:     hidden_group_size_y
      - .offset:         192
        .size:           2
        .value_kind:     hidden_group_size_z
      - .offset:         194
        .size:           2
        .value_kind:     hidden_remainder_x
      - .offset:         196
        .size:           2
        .value_kind:     hidden_remainder_y
      - .offset:         198
        .size:           2
        .value_kind:     hidden_remainder_z
      - .offset:         216
        .size:           8
        .value_kind:     hidden_global_offset_x
      - .offset:         224
        .size:           8
        .value_kind:     hidden_global_offset_y
      - .offset:         232
        .size:           8
        .value_kind:     hidden_global_offset_z
      - .offset:         240
        .size:           2
        .value_kind:     hidden_grid_dims
    .group_segment_fixed_size: 0
    .kernarg_segment_align: 8
    .kernarg_segment_size: 432
    .language:       OpenCL C
    .language_version:
      - 2
      - 0
    .max_flat_workgroup_size: 1024
    .name:           _ZN9rocsolver6v33100L11gemm_kernelIdlPKdPdPKS4_S4_EEvT0_S7_S7_T1_bT2_lS7_S7_lbT3_lS7_S7_lS8_T4_lS7_S7_l
    .private_segment_fixed_size: 0
    .sgpr_count:     56
    .sgpr_spill_count: 0
    .symbol:         _ZN9rocsolver6v33100L11gemm_kernelIdlPKdPdPKS4_S4_EEvT0_S7_S7_T1_bT2_lS7_S7_lbT3_lS7_S7_lS8_T4_lS7_S7_l.kd
    .uniform_work_group_size: 1
    .uses_dynamic_stack: false
    .vgpr_count:     16
    .vgpr_spill_count: 0
    .wavefront_size: 64
  - .agpr_count:     0
    .args:
      - .offset:         0
        .size:           8
        .value_kind:     by_value
      - .offset:         8
        .size:           8
        .value_kind:     by_value
      - .offset:         16
        .size:           8
        .value_kind:     by_value
      - .offset:         24
        .size:           8
        .value_kind:     by_value
      - .offset:         32
        .size:           1
        .value_kind:     by_value
      - .address_space:  global
        .offset:         40
        .size:           8
        .value_kind:     global_buffer
      - .offset:         48
        .size:           8
        .value_kind:     by_value
      - .offset:         56
        .size:           8
        .value_kind:     by_value
      - .offset:         64
        .size:           8
        .value_kind:     by_value
      - .offset:         72
        .size:           8
        .value_kind:     by_value
      - .offset:         80
        .size:           1
        .value_kind:     by_value
      - .address_space:  global
        .offset:         88
        .size:           8
        .value_kind:     global_buffer
      - .offset:         96
        .size:           8
        .value_kind:     by_value
      - .offset:         104
        .size:           8
        .value_kind:     by_value
      - .offset:         112
        .size:           8
        .value_kind:     by_value
      - .offset:         120
        .size:           8
        .value_kind:     by_value
      - .offset:         128
        .size:           8
        .value_kind:     by_value
      - .address_space:  global
        .offset:         136
        .size:           8
        .value_kind:     global_buffer
      - .offset:         144
        .size:           8
        .value_kind:     by_value
      - .offset:         152
        .size:           8
        .value_kind:     by_value
      - .offset:         160
        .size:           8
        .value_kind:     by_value
      - .offset:         168
        .size:           8
        .value_kind:     by_value
      - .offset:         176
        .size:           4
        .value_kind:     hidden_block_count_x
      - .offset:         180
        .size:           4
        .value_kind:     hidden_block_count_y
      - .offset:         184
        .size:           4
        .value_kind:     hidden_block_count_z
      - .offset:         188
        .size:           2
        .value_kind:     hidden_group_size_x
      - .offset:         190
        .size:           2
        .value_kind:     hidden_group_size_y
      - .offset:         192
        .size:           2
        .value_kind:     hidden_group_size_z
      - .offset:         194
        .size:           2
        .value_kind:     hidden_remainder_x
      - .offset:         196
        .size:           2
        .value_kind:     hidden_remainder_y
      - .offset:         198
        .size:           2
        .value_kind:     hidden_remainder_z
      - .offset:         216
        .size:           8
        .value_kind:     hidden_global_offset_x
      - .offset:         224
        .size:           8
        .value_kind:     hidden_global_offset_y
      - .offset:         232
        .size:           8
        .value_kind:     hidden_global_offset_z
      - .offset:         240
        .size:           2
        .value_kind:     hidden_grid_dims
    .group_segment_fixed_size: 0
    .kernarg_segment_align: 8
    .kernarg_segment_size: 432
    .language:       OpenCL C
    .language_version:
      - 2
      - 0
    .max_flat_workgroup_size: 1024
    .name:           _ZN9rocsolver6v33100L11gemm_kernelIdldPdPKS2_S2_EEvT0_S5_S5_T1_bT2_lS5_S5_lbT3_lS5_S5_lS6_T4_lS5_S5_l
    .private_segment_fixed_size: 0
    .sgpr_count:     48
    .sgpr_spill_count: 0
    .symbol:         _ZN9rocsolver6v33100L11gemm_kernelIdldPdPKS2_S2_EEvT0_S5_S5_T1_bT2_lS5_S5_lbT3_lS5_S5_lS6_T4_lS5_S5_l.kd
    .uniform_work_group_size: 1
    .uses_dynamic_stack: false
    .vgpr_count:     16
    .vgpr_spill_count: 0
    .wavefront_size: 64
  - .agpr_count:     0
    .args:
      - .offset:         0
        .size:           4
        .value_kind:     by_value
      - .offset:         4
        .size:           4
        .value_kind:     by_value
      - .offset:         8
        .size:           8
        .value_kind:     by_value
      - .offset:         16
        .size:           8
        .value_kind:     by_value
      - .offset:         24
        .size:           8
        .value_kind:     by_value
      - .address_space:  global
        .offset:         32
        .size:           8
        .value_kind:     global_buffer
      - .address_space:  global
        .offset:         40
        .size:           8
        .value_kind:     global_buffer
      - .offset:         48
        .size:           8
        .value_kind:     by_value
      - .offset:         56
        .size:           8
        .value_kind:     by_value
      - .offset:         64
        .size:           8
        .value_kind:     by_value
      - .offset:         72
        .size:           8
        .value_kind:     by_value
      - .address_space:  global
        .offset:         80
        .size:           8
        .value_kind:     global_buffer
      - .offset:         88
        .size:           8
        .value_kind:     by_value
      - .offset:         96
        .size:           8
        .value_kind:     by_value
      - .offset:         104
        .size:           8
        .value_kind:     by_value
      - .offset:         112
        .size:           8
        .value_kind:     by_value
      - .address_space:  global
        .offset:         120
        .size:           8
        .value_kind:     global_buffer
      - .address_space:  global
        .offset:         128
        .size:           8
        .value_kind:     global_buffer
      - .offset:         136
        .size:           8
        .value_kind:     by_value
      - .offset:         144
        .size:           8
        .value_kind:     by_value
      - .offset:         152
        .size:           8
        .value_kind:     by_value
      - .offset:         160
        .size:           8
        .value_kind:     by_value
      - .offset:         168
        .size:           4
        .value_kind:     hidden_block_count_x
      - .offset:         172
        .size:           4
        .value_kind:     hidden_block_count_y
      - .offset:         176
        .size:           4
        .value_kind:     hidden_block_count_z
      - .offset:         180
        .size:           2
        .value_kind:     hidden_group_size_x
      - .offset:         182
        .size:           2
        .value_kind:     hidden_group_size_y
      - .offset:         184
        .size:           2
        .value_kind:     hidden_group_size_z
      - .offset:         186
        .size:           2
        .value_kind:     hidden_remainder_x
      - .offset:         188
        .size:           2
        .value_kind:     hidden_remainder_y
      - .offset:         190
        .size:           2
        .value_kind:     hidden_remainder_z
      - .offset:         208
        .size:           8
        .value_kind:     hidden_global_offset_x
      - .offset:         216
        .size:           8
        .value_kind:     hidden_global_offset_y
      - .offset:         224
        .size:           8
        .value_kind:     hidden_global_offset_z
      - .offset:         232
        .size:           2
        .value_kind:     hidden_grid_dims
    .group_segment_fixed_size: 0
    .kernarg_segment_align: 8
    .kernarg_segment_size: 424
    .language:       OpenCL C
    .language_version:
      - 2
      - 0
    .max_flat_workgroup_size: 1024
    .name:           _ZN9rocsolver6v33100L16mfma_gemm_kernelIdlPKdPdS4_PKS4_EEv18rocblas_operation_S7_T0_S8_S8_T1_T2_lS8_S8_lT3_lS8_S8_lS9_T4_lS8_S8_l
    .private_segment_fixed_size: 0
    .sgpr_count:     56
    .sgpr_spill_count: 0
    .symbol:         _ZN9rocsolver6v33100L16mfma_gemm_kernelIdlPKdPdS4_PKS4_EEv18rocblas_operation_S7_T0_S8_S8_T1_T2_lS8_S8_lT3_lS8_S8_lS9_T4_lS8_S8_l.kd
    .uniform_work_group_size: 1
    .uses_dynamic_stack: false
    .vgpr_count:     37
    .vgpr_spill_count: 0
    .wavefront_size: 64
  - .agpr_count:     0
    .args:
      - .offset:         0
        .size:           4
        .value_kind:     by_value
      - .offset:         4
        .size:           4
        .value_kind:     by_value
      - .offset:         8
        .size:           8
        .value_kind:     by_value
      - .offset:         16
        .size:           8
        .value_kind:     by_value
      - .offset:         24
        .size:           8
        .value_kind:     by_value
      - .offset:         32
        .size:           8
        .value_kind:     by_value
      - .address_space:  global
        .offset:         40
        .size:           8
        .value_kind:     global_buffer
      - .offset:         48
        .size:           8
        .value_kind:     by_value
      - .offset:         56
        .size:           8
        .value_kind:     by_value
      - .offset:         64
        .size:           8
        .value_kind:     by_value
      - .offset:         72
        .size:           8
        .value_kind:     by_value
      - .address_space:  global
        .offset:         80
        .size:           8
        .value_kind:     global_buffer
      - .offset:         88
        .size:           8
        .value_kind:     by_value
      - .offset:         96
        .size:           8
        .value_kind:     by_value
      - .offset:         104
        .size:           8
        .value_kind:     by_value
      - .offset:         112
        .size:           8
        .value_kind:     by_value
      - .offset:         120
        .size:           8
        .value_kind:     by_value
      - .address_space:  global
        .offset:         128
        .size:           8
        .value_kind:     global_buffer
      - .offset:         136
        .size:           8
        .value_kind:     by_value
      - .offset:         144
        .size:           8
        .value_kind:     by_value
      - .offset:         152
        .size:           8
        .value_kind:     by_value
      - .offset:         160
        .size:           8
        .value_kind:     by_value
      - .offset:         168
        .size:           4
        .value_kind:     hidden_block_count_x
      - .offset:         172
        .size:           4
        .value_kind:     hidden_block_count_y
      - .offset:         176
        .size:           4
        .value_kind:     hidden_block_count_z
      - .offset:         180
        .size:           2
        .value_kind:     hidden_group_size_x
      - .offset:         182
        .size:           2
        .value_kind:     hidden_group_size_y
      - .offset:         184
        .size:           2
        .value_kind:     hidden_group_size_z
      - .offset:         186
        .size:           2
        .value_kind:     hidden_remainder_x
      - .offset:         188
        .size:           2
        .value_kind:     hidden_remainder_y
      - .offset:         190
        .size:           2
        .value_kind:     hidden_remainder_z
      - .offset:         208
        .size:           8
        .value_kind:     hidden_global_offset_x
      - .offset:         216
        .size:           8
        .value_kind:     hidden_global_offset_y
      - .offset:         224
        .size:           8
        .value_kind:     hidden_global_offset_z
      - .offset:         232
        .size:           2
        .value_kind:     hidden_grid_dims
    .group_segment_fixed_size: 0
    .kernarg_segment_align: 8
    .kernarg_segment_size: 424
    .language:       OpenCL C
    .language_version:
      - 2
      - 0
    .max_flat_workgroup_size: 1024
    .name:           _ZN9rocsolver6v33100L16mfma_gemm_kernelIdldPdS2_PKS2_EEv18rocblas_operation_S5_T0_S6_S6_T1_T2_lS6_S6_lT3_lS6_S6_lS7_T4_lS6_S6_l
    .private_segment_fixed_size: 0
    .sgpr_count:     56
    .sgpr_spill_count: 0
    .symbol:         _ZN9rocsolver6v33100L16mfma_gemm_kernelIdldPdS2_PKS2_EEv18rocblas_operation_S5_T0_S6_S6_T1_T2_lS6_S6_lT3_lS6_S6_lS7_T4_lS6_S6_l.kd
    .uniform_work_group_size: 1
    .uses_dynamic_stack: false
    .vgpr_count:     37
    .vgpr_spill_count: 0
    .wavefront_size: 64
  - .agpr_count:     0
    .args:
      - .offset:         0
        .size:           8
        .value_kind:     by_value
      - .offset:         8
        .size:           8
        .value_kind:     by_value
      - .offset:         16
        .size:           8
        .value_kind:     by_value
      - .address_space:  global
        .offset:         24
        .size:           8
        .value_kind:     global_buffer
      - .offset:         32
        .size:           1
        .value_kind:     by_value
      - .address_space:  global
        .offset:         40
        .size:           8
        .value_kind:     global_buffer
      - .offset:         48
        .size:           8
        .value_kind:     by_value
      - .offset:         56
        .size:           8
        .value_kind:     by_value
      - .offset:         64
        .size:           8
        .value_kind:     by_value
      - .offset:         72
        .size:           8
        .value_kind:     by_value
      - .offset:         80
        .size:           1
        .value_kind:     by_value
      - .address_space:  global
        .offset:         88
        .size:           8
        .value_kind:     global_buffer
      - .offset:         96
        .size:           8
        .value_kind:     by_value
      - .offset:         104
        .size:           8
        .value_kind:     by_value
      - .offset:         112
        .size:           8
        .value_kind:     by_value
      - .offset:         120
        .size:           8
        .value_kind:     by_value
      - .address_space:  global
        .offset:         128
        .size:           8
        .value_kind:     global_buffer
      - .address_space:  global
        .offset:         136
        .size:           8
        .value_kind:     global_buffer
      - .offset:         144
        .size:           8
        .value_kind:     by_value
      - .offset:         152
        .size:           8
        .value_kind:     by_value
      - .offset:         160
        .size:           8
        .value_kind:     by_value
      - .offset:         168
        .size:           8
        .value_kind:     by_value
      - .offset:         176
        .size:           4
        .value_kind:     hidden_block_count_x
      - .offset:         180
        .size:           4
        .value_kind:     hidden_block_count_y
      - .offset:         184
        .size:           4
        .value_kind:     hidden_block_count_z
      - .offset:         188
        .size:           2
        .value_kind:     hidden_group_size_x
      - .offset:         190
        .size:           2
        .value_kind:     hidden_group_size_y
      - .offset:         192
        .size:           2
        .value_kind:     hidden_group_size_z
      - .offset:         194
        .size:           2
        .value_kind:     hidden_remainder_x
      - .offset:         196
        .size:           2
        .value_kind:     hidden_remainder_y
      - .offset:         198
        .size:           2
        .value_kind:     hidden_remainder_z
      - .offset:         216
        .size:           8
        .value_kind:     hidden_global_offset_x
      - .offset:         224
        .size:           8
        .value_kind:     hidden_global_offset_y
      - .offset:         232
        .size:           8
        .value_kind:     hidden_global_offset_z
      - .offset:         240
        .size:           2
        .value_kind:     hidden_grid_dims
    .group_segment_fixed_size: 0
    .kernarg_segment_align: 8
    .kernarg_segment_size: 432
    .language:       OpenCL C
    .language_version:
      - 2
      - 0
    .max_flat_workgroup_size: 1024
    .name:           _ZN9rocsolver6v33100L11gemm_kernelIdlPKdPdS4_PKS4_EEvT0_S7_S7_T1_bT2_lS7_S7_lbT3_lS7_S7_lS8_T4_lS7_S7_l
    .private_segment_fixed_size: 0
    .sgpr_count:     48
    .sgpr_spill_count: 0
    .symbol:         _ZN9rocsolver6v33100L11gemm_kernelIdlPKdPdS4_PKS4_EEvT0_S7_S7_T1_bT2_lS7_S7_lbT3_lS7_S7_lS8_T4_lS7_S7_l.kd
    .uniform_work_group_size: 1
    .uses_dynamic_stack: false
    .vgpr_count:     16
    .vgpr_spill_count: 0
    .wavefront_size: 64
  - .agpr_count:     0
    .args:
      - .offset:         0
        .size:           8
        .value_kind:     by_value
      - .offset:         8
        .size:           8
        .value_kind:     by_value
      - .offset:         16
        .size:           8
        .value_kind:     by_value
      - .offset:         24
        .size:           8
        .value_kind:     by_value
      - .offset:         32
        .size:           1
        .value_kind:     by_value
      - .address_space:  global
        .offset:         40
        .size:           8
        .value_kind:     global_buffer
      - .offset:         48
        .size:           8
        .value_kind:     by_value
      - .offset:         56
        .size:           8
        .value_kind:     by_value
      - .offset:         64
        .size:           8
        .value_kind:     by_value
      - .offset:         72
        .size:           8
        .value_kind:     by_value
      - .offset:         80
        .size:           1
        .value_kind:     by_value
      - .address_space:  global
        .offset:         88
        .size:           8
        .value_kind:     global_buffer
      - .offset:         96
        .size:           8
        .value_kind:     by_value
      - .offset:         104
        .size:           8
        .value_kind:     by_value
      - .offset:         112
        .size:           8
        .value_kind:     by_value
      - .offset:         120
        .size:           8
        .value_kind:     by_value
      - .offset:         128
        .size:           8
        .value_kind:     by_value
      - .address_space:  global
        .offset:         136
        .size:           8
        .value_kind:     global_buffer
      - .offset:         144
        .size:           8
        .value_kind:     by_value
      - .offset:         152
        .size:           8
        .value_kind:     by_value
      - .offset:         160
        .size:           8
        .value_kind:     by_value
      - .offset:         168
        .size:           8
        .value_kind:     by_value
      - .offset:         176
        .size:           4
        .value_kind:     hidden_block_count_x
      - .offset:         180
        .size:           4
        .value_kind:     hidden_block_count_y
      - .offset:         184
        .size:           4
        .value_kind:     hidden_block_count_z
      - .offset:         188
        .size:           2
        .value_kind:     hidden_group_size_x
      - .offset:         190
        .size:           2
        .value_kind:     hidden_group_size_y
      - .offset:         192
        .size:           2
        .value_kind:     hidden_group_size_z
      - .offset:         194
        .size:           2
        .value_kind:     hidden_remainder_x
      - .offset:         196
        .size:           2
        .value_kind:     hidden_remainder_y
      - .offset:         198
        .size:           2
        .value_kind:     hidden_remainder_z
      - .offset:         216
        .size:           8
        .value_kind:     hidden_global_offset_x
      - .offset:         224
        .size:           8
        .value_kind:     hidden_global_offset_y
      - .offset:         232
        .size:           8
        .value_kind:     hidden_global_offset_z
      - .offset:         240
        .size:           2
        .value_kind:     hidden_grid_dims
    .group_segment_fixed_size: 0
    .kernarg_segment_align: 8
    .kernarg_segment_size: 432
    .language:       OpenCL C
    .language_version:
      - 2
      - 0
    .max_flat_workgroup_size: 1024
    .name:           _ZN9rocsolver6v33100L11gemm_kernelIdldPdS2_PKS2_EEvT0_S5_S5_T1_bT2_lS5_S5_lbT3_lS5_S5_lS6_T4_lS5_S5_l
    .private_segment_fixed_size: 0
    .sgpr_count:     48
    .sgpr_spill_count: 0
    .symbol:         _ZN9rocsolver6v33100L11gemm_kernelIdldPdS2_PKS2_EEvT0_S5_S5_T1_bT2_lS5_S5_lbT3_lS5_S5_lS6_T4_lS5_S5_l.kd
    .uniform_work_group_size: 1
    .uses_dynamic_stack: false
    .vgpr_count:     16
    .vgpr_spill_count: 0
    .wavefront_size: 64
amdhsa.target:   amdgcn-amd-amdhsa--gfx90a
amdhsa.version:
  - 1
  - 2
...

	.end_amdgpu_metadata
